;; amdgpu-corpus repo=ROCm/rocFFT kind=compiled arch=gfx1201 opt=O3
	.text
	.amdgcn_target "amdgcn-amd-amdhsa--gfx1201"
	.amdhsa_code_object_version 6
	.protected	fft_rtc_back_len289_factors_17_17_wgs_119_tpt_17_dp_op_CI_CI_sbcc_twdbase6_3step_dirReg ; -- Begin function fft_rtc_back_len289_factors_17_17_wgs_119_tpt_17_dp_op_CI_CI_sbcc_twdbase6_3step_dirReg
	.globl	fft_rtc_back_len289_factors_17_17_wgs_119_tpt_17_dp_op_CI_CI_sbcc_twdbase6_3step_dirReg
	.p2align	8
	.type	fft_rtc_back_len289_factors_17_17_wgs_119_tpt_17_dp_op_CI_CI_sbcc_twdbase6_3step_dirReg,@function
fft_rtc_back_len289_factors_17_17_wgs_119_tpt_17_dp_op_CI_CI_sbcc_twdbase6_3step_dirReg: ; @fft_rtc_back_len289_factors_17_17_wgs_119_tpt_17_dp_op_CI_CI_sbcc_twdbase6_3step_dirReg
; %bb.0:
	s_clause 0x2
	s_load_b64 s[22:23], s[0:1], 0x0
	s_load_b256 s[4:11], s[0:1], 0x8
	s_load_b64 s[24:25], s[0:1], 0x28
	v_mov_b32_e32 v9, v0
	s_mov_b32 s3, exec_lo
	s_delay_alu instid0(VALU_DEP_1)
	v_cmpx_gt_u32_e32 0xc0, v9
	s_cbranch_execz .LBB0_3
; %bb.1:
	v_lshlrev_b32_e32 v4, 4, v9
	v_add_co_u32 v0, s2, 0xffffff89, v9
	s_delay_alu instid0(VALU_DEP_1) | instskip(SKIP_1) | instid1(VALU_DEP_3)
	v_add_co_ci_u32_e64 v1, null, 0, -1, s2
	s_wait_kmcnt 0x0
	v_add_co_u32 v2, s2, s4, v4
	s_wait_alu 0xf1ff
	v_add_co_ci_u32_e64 v3, null, s5, 0, s2
	v_add3_u32 v4, v4, 0, 0x7e70
	s_mov_b32 s4, 0
.LBB0_2:                                ; =>This Inner Loop Header: Depth=1
	global_load_b128 v[5:8], v[2:3], off
	v_add_co_u32 v0, vcc_lo, 0x77, v0
	s_wait_alu 0xfffd
	v_add_co_ci_u32_e32 v1, vcc_lo, 0, v1, vcc_lo
	v_add_co_u32 v2, vcc_lo, 0x770, v2
	s_wait_alu 0xfffd
	v_add_co_ci_u32_e32 v3, vcc_lo, 0, v3, vcc_lo
	s_delay_alu instid0(VALU_DEP_3) | instskip(SKIP_1) | instid1(VALU_DEP_1)
	v_cmp_lt_u64_e64 s2, 0x48, v[0:1]
	s_wait_alu 0xfffe
	s_or_b32 s4, s2, s4
	s_wait_loadcnt 0x0
	ds_store_2addr_b64 v4, v[5:6], v[7:8] offset1:1
	v_add_nc_u32_e32 v4, 0x770, v4
	s_wait_alu 0xfffe
	s_and_not1_b32 exec_lo, exec_lo, s4
	s_cbranch_execnz .LBB0_2
.LBB0_3:
	s_or_b32 exec_lo, exec_lo, s3
	s_mov_b32 s29, 0
	s_load_b128 s[12:15], s[0:1], 0x60
	s_mov_b32 s0, 0x92481000
	s_movk_i32 s1, 0x64
	s_mov_b32 s28, s29
	s_wait_kmcnt 0x0
	s_load_b64 s[26:27], s[8:9], 0x8
	s_add_nc_u64 s[0:1], s[28:29], s[0:1]
	s_mov_b64 s[20:21], 0
	s_add_co_i32 s1, s1, 0x249248c0
	s_delay_alu instid0(SALU_CYCLE_1)
	s_mul_u64 s[2:3], s[0:1], -7
	s_wait_alu 0xfffe
	s_mul_hi_u32 s5, s0, s3
	s_mul_i32 s4, s0, s3
	s_mul_hi_u32 s28, s0, s2
	s_mul_hi_u32 s16, s1, s2
	s_mul_i32 s2, s1, s2
	s_wait_alu 0xfffe
	s_add_nc_u64 s[4:5], s[28:29], s[4:5]
	s_mul_hi_u32 s17, s1, s3
	s_wait_alu 0xfffe
	s_add_co_u32 s2, s4, s2
	s_add_co_ci_u32 s28, s5, s16
	s_add_co_ci_u32 s5, s17, 0
	s_mul_i32 s4, s1, s3
	s_wait_alu 0xfffe
	s_add_nc_u64 s[2:3], s[28:29], s[4:5]
	s_wait_kmcnt 0x0
	s_add_nc_u64 s[4:5], s[26:27], -1
	s_wait_alu 0xfffe
	v_add_co_u32 v0, s0, s0, s2
	s_delay_alu instid0(VALU_DEP_1) | instskip(SKIP_1) | instid1(VALU_DEP_1)
	s_cmp_lg_u32 s0, 0
	s_add_co_ci_u32 s2, s1, s3
	v_readfirstlane_b32 s3, v0
	s_wait_alu 0xfffe
	s_mul_hi_u32 s1, s4, s2
	s_mul_i32 s0, s4, s2
	s_mul_hi_u32 s16, s5, s2
	s_mul_i32 s2, s5, s2
	;; [unrolled: 2-line block ×3, first 2 shown]
	s_wait_alu 0xfffe
	s_add_nc_u64 s[0:1], s[28:29], s[0:1]
	s_mul_hi_u32 s3, s5, s3
	s_wait_alu 0xfffe
	s_add_co_u32 s0, s0, s17
	s_add_co_ci_u32 s28, s1, s3
	s_add_co_ci_u32 s3, s16, 0
	s_wait_alu 0xfffe
	s_add_nc_u64 s[0:1], s[28:29], s[2:3]
	s_wait_alu 0xfffe
	s_mov_b32 s28, ttmp9
	s_mul_u64 s[2:3], s[0:1], 7
	s_wait_alu 0xfffe
	v_sub_co_u32 v0, s2, s4, s2
	s_delay_alu instid0(VALU_DEP_1) | instskip(SKIP_1) | instid1(VALU_DEP_1)
	s_cmp_lg_u32 s2, 0
	s_sub_co_ci_u32 s16, s5, s3
	v_sub_co_u32 v1, s4, v0, 7
	s_delay_alu instid0(VALU_DEP_1) | instskip(SKIP_2) | instid1(VALU_DEP_2)
	s_cmp_lg_u32 s4, 0
	v_readfirstlane_b32 s18, v0
	s_sub_co_ci_u32 s4, s16, 0
	v_readfirstlane_b32 s2, v1
	s_delay_alu instid0(VALU_DEP_1)
	s_cmp_gt_u32 s2, 6
	s_add_nc_u64 s[2:3], s[0:1], 1
	s_cselect_b32 s17, -1, 0
	s_wait_alu 0xfffe
	s_cmp_eq_u32 s4, 0
	s_add_nc_u64 s[4:5], s[0:1], 2
	s_cselect_b32 s17, s17, -1
	s_delay_alu instid0(SALU_CYCLE_1)
	s_cmp_lg_u32 s17, 0
	s_wait_alu 0xfffe
	s_cselect_b32 s2, s4, s2
	s_cselect_b32 s3, s5, s3
	s_cmp_gt_u32 s18, 6
	s_cselect_b32 s4, -1, 0
	s_cmp_eq_u32 s16, 0
	s_wait_alu 0xfffe
	s_cselect_b32 s4, s4, -1
	s_wait_alu 0xfffe
	s_cmp_lg_u32 s4, 0
	s_cselect_b32 s1, s3, s1
	s_cselect_b32 s0, s2, s0
	s_wait_alu 0xfffe
	s_add_nc_u64 s[34:35], s[0:1], 1
	s_delay_alu instid0(SALU_CYCLE_1) | instskip(NEXT) | instid1(VALU_DEP_1)
	v_cmp_lt_u64_e64 s0, s[28:29], s[34:35]
	s_and_b32 vcc_lo, exec_lo, s0
	s_wait_alu 0xfffe
	s_cbranch_vccnz .LBB0_5
; %bb.4:
	v_cvt_f32_u32_e32 v0, s34
	s_sub_co_i32 s1, 0, s34
	s_mov_b32 s21, s29
	s_delay_alu instid0(VALU_DEP_1) | instskip(NEXT) | instid1(TRANS32_DEP_1)
	v_rcp_iflag_f32_e32 v0, v0
	v_mul_f32_e32 v0, 0x4f7ffffe, v0
	s_delay_alu instid0(VALU_DEP_1) | instskip(NEXT) | instid1(VALU_DEP_1)
	v_cvt_u32_f32_e32 v0, v0
	v_readfirstlane_b32 s0, v0
	s_wait_alu 0xfffe
	s_delay_alu instid0(VALU_DEP_1)
	s_mul_i32 s1, s1, s0
	s_wait_alu 0xfffe
	s_mul_hi_u32 s1, s0, s1
	s_wait_alu 0xfffe
	s_add_co_i32 s0, s0, s1
	s_wait_alu 0xfffe
	s_mul_hi_u32 s0, s28, s0
	s_wait_alu 0xfffe
	s_mul_i32 s1, s0, s34
	s_add_co_i32 s2, s0, 1
	s_wait_alu 0xfffe
	s_sub_co_i32 s1, s28, s1
	s_wait_alu 0xfffe
	s_sub_co_i32 s3, s1, s34
	s_cmp_ge_u32 s1, s34
	s_cselect_b32 s0, s2, s0
	s_wait_alu 0xfffe
	s_cselect_b32 s1, s3, s1
	s_add_co_i32 s2, s0, 1
	s_wait_alu 0xfffe
	s_cmp_ge_u32 s1, s34
	s_cselect_b32 s20, s2, s0
.LBB0_5:
	s_load_b128 s[16:19], s[10:11], 0x0
	s_load_b128 s[0:3], s[24:25], 0x0
	v_cmp_lt_u64_e64 s30, s[6:7], 3
	s_mul_u64 s[4:5], s[20:21], s[34:35]
	s_wait_alu 0xfffe
	s_sub_nc_u64 s[4:5], s[28:29], s[4:5]
	s_wait_alu 0xfffe
	s_mul_u64 s[36:37], s[4:5], 7
	s_and_b32 vcc_lo, exec_lo, s30
	s_wait_kmcnt 0x0
	s_mul_u64 s[30:31], s[18:19], s[36:37]
	s_mul_u64 s[4:5], s[2:3], s[36:37]
	s_wait_alu 0xfffe
	s_cbranch_vccnz .LBB0_15
; %bb.6:
	s_add_nc_u64 s[38:39], s[24:25], 16
	s_add_nc_u64 s[40:41], s[10:11], 16
	;; [unrolled: 1-line block ×3, first 2 shown]
	s_mov_b64 s[42:43], 2
	s_mov_b32 s44, 0
.LBB0_7:                                ; =>This Inner Loop Header: Depth=1
	s_load_b64 s[46:47], s[8:9], 0x0
                                        ; implicit-def: $sgpr50_sgpr51
	s_wait_kmcnt 0x0
	s_or_b64 s[48:49], s[20:21], s[46:47]
	s_delay_alu instid0(SALU_CYCLE_1)
	s_mov_b32 s45, s49
	s_mov_b32 s49, -1
	s_cmp_lg_u64 s[44:45], 0
	s_cbranch_scc0 .LBB0_9
; %bb.8:                                ;   in Loop: Header=BB0_7 Depth=1
	s_cvt_f32_u32 s33, s46
	s_cvt_f32_u32 s45, s47
	s_sub_nc_u64 s[52:53], 0, s[46:47]
	s_mov_b32 s49, 0
	s_mov_b32 s57, s44
	s_wait_alu 0xfffe
	s_fmamk_f32 s33, s45, 0x4f800000, s33
	s_wait_alu 0xfffe
	s_delay_alu instid0(SALU_CYCLE_2) | instskip(NEXT) | instid1(TRANS32_DEP_1)
	v_s_rcp_f32 s33, s33
	s_mul_f32 s33, s33, 0x5f7ffffc
	s_wait_alu 0xfffe
	s_delay_alu instid0(SALU_CYCLE_2) | instskip(NEXT) | instid1(SALU_CYCLE_3)
	s_mul_f32 s45, s33, 0x2f800000
	s_trunc_f32 s45, s45
	s_delay_alu instid0(SALU_CYCLE_3) | instskip(SKIP_2) | instid1(SALU_CYCLE_1)
	s_fmamk_f32 s33, s45, 0xcf800000, s33
	s_cvt_u32_f32 s51, s45
	s_wait_alu 0xfffe
	s_cvt_u32_f32 s50, s33
	s_wait_alu 0xfffe
	s_delay_alu instid0(SALU_CYCLE_2)
	s_mul_u64 s[54:55], s[52:53], s[50:51]
	s_wait_alu 0xfffe
	s_mul_hi_u32 s59, s50, s55
	s_mul_i32 s58, s50, s55
	s_mul_hi_u32 s48, s50, s54
	s_mul_i32 s45, s51, s54
	s_add_nc_u64 s[58:59], s[48:49], s[58:59]
	s_mul_hi_u32 s33, s51, s54
	s_mul_hi_u32 s60, s51, s55
	s_add_co_u32 s45, s58, s45
	s_wait_alu 0xfffe
	s_add_co_ci_u32 s56, s59, s33
	s_mul_i32 s54, s51, s55
	s_add_co_ci_u32 s55, s60, 0
	s_wait_alu 0xfffe
	s_add_nc_u64 s[54:55], s[56:57], s[54:55]
	s_wait_alu 0xfffe
	v_add_co_u32 v0, s33, s50, s54
	s_delay_alu instid0(VALU_DEP_1) | instskip(SKIP_1) | instid1(VALU_DEP_1)
	s_cmp_lg_u32 s33, 0
	s_add_co_ci_u32 s51, s51, s55
	v_readfirstlane_b32 s50, v0
	s_mov_b32 s55, s44
	s_wait_alu 0xfffe
	s_delay_alu instid0(VALU_DEP_1)
	s_mul_u64 s[52:53], s[52:53], s[50:51]
	s_wait_alu 0xfffe
	s_mul_hi_u32 s57, s50, s53
	s_mul_i32 s56, s50, s53
	s_mul_hi_u32 s48, s50, s52
	s_mul_i32 s45, s51, s52
	s_add_nc_u64 s[56:57], s[48:49], s[56:57]
	s_mul_hi_u32 s33, s51, s52
	s_mul_hi_u32 s50, s51, s53
	s_add_co_u32 s45, s56, s45
	s_wait_alu 0xfffe
	s_add_co_ci_u32 s54, s57, s33
	s_mul_i32 s52, s51, s53
	s_add_co_ci_u32 s53, s50, 0
	s_wait_alu 0xfffe
	s_add_nc_u64 s[52:53], s[54:55], s[52:53]
	s_wait_alu 0xfffe
	v_add_co_u32 v0, s33, v0, s52
	s_delay_alu instid0(VALU_DEP_1) | instskip(SKIP_1) | instid1(VALU_DEP_1)
	s_cmp_lg_u32 s33, 0
	s_add_co_ci_u32 s33, s51, s53
	v_readfirstlane_b32 s45, v0
	s_wait_alu 0xfffe
	s_mul_hi_u32 s51, s20, s33
	s_mul_i32 s50, s20, s33
	s_mul_hi_u32 s53, s21, s33
	s_mul_i32 s52, s21, s33
	;; [unrolled: 2-line block ×3, first 2 shown]
	s_wait_alu 0xfffe
	s_add_nc_u64 s[50:51], s[48:49], s[50:51]
	s_mul_hi_u32 s45, s21, s45
	s_wait_alu 0xfffe
	s_add_co_u32 s33, s50, s33
	s_add_co_ci_u32 s54, s51, s45
	s_add_co_ci_u32 s53, s53, 0
	s_wait_alu 0xfffe
	s_add_nc_u64 s[50:51], s[54:55], s[52:53]
	s_wait_alu 0xfffe
	s_mul_u64 s[52:53], s[46:47], s[50:51]
	s_add_nc_u64 s[54:55], s[50:51], 1
	s_wait_alu 0xfffe
	v_sub_co_u32 v0, s33, s20, s52
	s_sub_co_i32 s45, s21, s53
	s_cmp_lg_u32 s33, 0
	s_add_nc_u64 s[56:57], s[50:51], 2
	s_delay_alu instid0(VALU_DEP_1) | instskip(SKIP_2) | instid1(VALU_DEP_1)
	v_sub_co_u32 v1, s48, v0, s46
	s_sub_co_ci_u32 s45, s45, s47
	s_cmp_lg_u32 s48, 0
	v_readfirstlane_b32 s48, v1
	s_sub_co_ci_u32 s45, s45, 0
	s_delay_alu instid0(SALU_CYCLE_1) | instskip(SKIP_1) | instid1(VALU_DEP_1)
	s_cmp_ge_u32 s45, s47
	s_cselect_b32 s52, -1, 0
	s_cmp_ge_u32 s48, s46
	s_cselect_b32 s48, -1, 0
	s_cmp_eq_u32 s45, s47
	s_wait_alu 0xfffe
	s_cselect_b32 s45, s48, s52
	s_delay_alu instid0(SALU_CYCLE_1)
	s_cmp_lg_u32 s45, 0
	s_cselect_b32 s45, s56, s54
	s_cselect_b32 s48, s57, s55
	s_cmp_lg_u32 s33, 0
	v_readfirstlane_b32 s33, v0
	s_sub_co_ci_u32 s52, s21, s53
	s_wait_alu 0xfffe
	s_cmp_ge_u32 s52, s47
	s_cselect_b32 s53, -1, 0
	s_cmp_ge_u32 s33, s46
	s_cselect_b32 s33, -1, 0
	s_cmp_eq_u32 s52, s47
	s_wait_alu 0xfffe
	s_cselect_b32 s33, s33, s53
	s_wait_alu 0xfffe
	s_cmp_lg_u32 s33, 0
	s_cselect_b32 s51, s48, s51
	s_cselect_b32 s50, s45, s50
.LBB0_9:                                ;   in Loop: Header=BB0_7 Depth=1
	s_and_not1_b32 vcc_lo, exec_lo, s49
	s_wait_alu 0xfffe
	s_cbranch_vccnz .LBB0_11
; %bb.10:                               ;   in Loop: Header=BB0_7 Depth=1
	v_cvt_f32_u32_e32 v0, s46
	s_sub_co_i32 s45, 0, s46
	s_mov_b32 s51, s44
	s_delay_alu instid0(VALU_DEP_1) | instskip(NEXT) | instid1(TRANS32_DEP_1)
	v_rcp_iflag_f32_e32 v0, v0
	v_mul_f32_e32 v0, 0x4f7ffffe, v0
	s_delay_alu instid0(VALU_DEP_1) | instskip(NEXT) | instid1(VALU_DEP_1)
	v_cvt_u32_f32_e32 v0, v0
	v_readfirstlane_b32 s33, v0
	s_delay_alu instid0(VALU_DEP_1) | instskip(NEXT) | instid1(SALU_CYCLE_1)
	s_mul_i32 s45, s45, s33
	s_mul_hi_u32 s45, s33, s45
	s_delay_alu instid0(SALU_CYCLE_1)
	s_add_co_i32 s33, s33, s45
	s_wait_alu 0xfffe
	s_mul_hi_u32 s33, s20, s33
	s_wait_alu 0xfffe
	s_mul_i32 s45, s33, s46
	s_add_co_i32 s48, s33, 1
	s_sub_co_i32 s45, s20, s45
	s_delay_alu instid0(SALU_CYCLE_1)
	s_sub_co_i32 s49, s45, s46
	s_cmp_ge_u32 s45, s46
	s_cselect_b32 s33, s48, s33
	s_cselect_b32 s45, s49, s45
	s_wait_alu 0xfffe
	s_add_co_i32 s48, s33, 1
	s_cmp_ge_u32 s45, s46
	s_cselect_b32 s50, s48, s33
.LBB0_11:                               ;   in Loop: Header=BB0_7 Depth=1
	s_load_b64 s[48:49], s[40:41], 0x0
	s_load_b64 s[52:53], s[38:39], 0x0
	s_add_nc_u64 s[42:43], s[42:43], 1
	s_mul_u64 s[34:35], s[46:47], s[34:35]
	s_wait_alu 0xfffe
	v_cmp_ge_u64_e64 s33, s[42:43], s[6:7]
	s_mul_u64 s[46:47], s[50:51], s[46:47]
	s_add_nc_u64 s[38:39], s[38:39], 8
	s_wait_alu 0xfffe
	s_sub_nc_u64 s[20:21], s[20:21], s[46:47]
	s_add_nc_u64 s[40:41], s[40:41], 8
	s_add_nc_u64 s[8:9], s[8:9], 8
	s_and_b32 vcc_lo, exec_lo, s33
	s_wait_kmcnt 0x0
	s_wait_alu 0xfffe
	s_mul_u64 s[46:47], s[48:49], s[20:21]
	s_mul_u64 s[20:21], s[52:53], s[20:21]
	s_wait_alu 0xfffe
	s_add_nc_u64 s[30:31], s[46:47], s[30:31]
	s_add_nc_u64 s[4:5], s[20:21], s[4:5]
	s_cbranch_vccnz .LBB0_13
; %bb.12:                               ;   in Loop: Header=BB0_7 Depth=1
	s_mov_b64 s[20:21], s[50:51]
	s_branch .LBB0_7
.LBB0_13:
	v_cmp_lt_u64_e64 s8, s[28:29], s[34:35]
	s_mov_b64 s[20:21], 0
	s_delay_alu instid0(VALU_DEP_1)
	s_and_b32 vcc_lo, exec_lo, s8
	s_wait_alu 0xfffe
	s_cbranch_vccnz .LBB0_15
; %bb.14:
	v_cvt_f32_u32_e32 v0, s34
	s_sub_co_i32 s9, 0, s34
	s_delay_alu instid0(VALU_DEP_1) | instskip(NEXT) | instid1(TRANS32_DEP_1)
	v_rcp_iflag_f32_e32 v0, v0
	v_mul_f32_e32 v0, 0x4f7ffffe, v0
	s_delay_alu instid0(VALU_DEP_1) | instskip(NEXT) | instid1(VALU_DEP_1)
	v_cvt_u32_f32_e32 v0, v0
	v_readfirstlane_b32 s8, v0
	s_delay_alu instid0(VALU_DEP_1) | instskip(NEXT) | instid1(SALU_CYCLE_1)
	s_mul_i32 s9, s9, s8
	s_mul_hi_u32 s9, s8, s9
	s_delay_alu instid0(SALU_CYCLE_1) | instskip(NEXT) | instid1(SALU_CYCLE_1)
	s_add_co_i32 s8, s8, s9
	s_mul_hi_u32 s8, s28, s8
	s_delay_alu instid0(SALU_CYCLE_1) | instskip(SKIP_2) | instid1(SALU_CYCLE_1)
	s_mul_i32 s9, s8, s34
	s_add_co_i32 s20, s8, 1
	s_sub_co_i32 s9, s28, s9
	s_sub_co_i32 s21, s9, s34
	s_cmp_ge_u32 s9, s34
	s_wait_alu 0xfffe
	s_cselect_b32 s8, s20, s8
	s_cselect_b32 s9, s21, s9
	s_add_co_i32 s20, s8, 1
	s_cmp_ge_u32 s9, s34
	s_mov_b32 s21, 0
	s_wait_alu 0xfffe
	s_cselect_b32 s20, s20, s8
.LBB0_15:
	v_mul_hi_u32 v69, 0x24924925, v9
	s_lshl_b64 s[6:7], s[6:7], 3
                                        ; implicit-def: $vgpr43_vgpr44
                                        ; implicit-def: $vgpr47_vgpr48
                                        ; implicit-def: $vgpr55_vgpr56
                                        ; implicit-def: $vgpr63_vgpr64
                                        ; implicit-def: $vgpr67_vgpr68
                                        ; implicit-def: $vgpr51_vgpr52
                                        ; implicit-def: $vgpr59_vgpr60
                                        ; implicit-def: $vgpr35_vgpr36
                                        ; implicit-def: $vgpr39_vgpr40
                                        ; implicit-def: $vgpr31_vgpr32
                                        ; implicit-def: $vgpr27_vgpr28
                                        ; implicit-def: $vgpr23_vgpr24
                                        ; implicit-def: $vgpr19_vgpr20
                                        ; implicit-def: $vgpr15_vgpr16
                                        ; implicit-def: $vgpr11_vgpr12
                                        ; implicit-def: $vgpr7_vgpr8
                                        ; implicit-def: $vgpr3_vgpr4
	s_wait_alu 0xfffe
	s_add_nc_u64 s[62:63], s[24:25], s[6:7]
	s_delay_alu instid0(VALU_DEP_1) | instskip(NEXT) | instid1(VALU_DEP_1)
	v_mul_u32_u24_e32 v0, 7, v69
	v_sub_nc_u32_e32 v0, v9, v0
	s_clause 0x1
	scratch_store_b32 off, v9, off offset:212
	scratch_store_b32 off, v0, off
	v_add_co_u32 v1, s8, s36, v0
	s_delay_alu instid0(VALU_DEP_1) | instskip(SKIP_1) | instid1(VALU_DEP_2)
	v_add_co_ci_u32_e64 v2, null, s37, 0, s8
	s_add_nc_u64 s[8:9], s[36:37], 7
	v_mov_b32_e32 v0, v1
	s_wait_alu 0xfffe
	v_cmp_le_u64_e64 s8, s[8:9], s[26:27]
	v_cmp_gt_u64_e32 vcc_lo, s[26:27], v[1:2]
	scratch_store_b64 off, v[0:1], off offset:216 ; 8-byte Folded Spill
	s_or_b32 s33, s8, vcc_lo
	s_wait_alu 0xfffe
	s_and_saveexec_b32 s8, s33
	s_cbranch_execz .LBB0_17
; %bb.16:
	scratch_load_b32 v5, off, off           ; 4-byte Folded Reload
	s_add_nc_u64 s[6:7], s[10:11], s[6:7]
	v_mad_co_u64_u32 v[3:4], null, s16, v69, 0
	s_load_b64 s[6:7], s[6:7], 0x0
	v_add_nc_u32_e32 v0, 17, v69
	s_lshl_b64 s[10:11], s[30:31], 4
	v_add_nc_u32_e32 v51, 0xee, v69
	v_add_nc_u32_e32 v66, 0xff, v69
	;; [unrolled: 1-line block ×5, first 2 shown]
	v_mad_co_u64_u32 v[53:54], null, s16, v51, 0
	v_add_nc_u32_e32 v50, 0xdd, v69
	s_delay_alu instid0(VALU_DEP_4)
	v_mad_co_u64_u32 v[25:26], null, s16, v20, 0
	v_add_nc_u32_e32 v24, 0x77, v69
	v_mad_co_u64_u32 v[55:56], null, s16, v66, 0
	v_mov_b32_e32 v49, v54
	v_mad_co_u64_u32 v[33:34], null, s16, v30, 0
	v_add_nc_u32_e32 v39, 0x99, v69
	s_wait_kmcnt 0x0
	s_mul_u64 s[6:7], s[6:7], s[20:21]
	v_add_nc_u32_e32 v47, 0xcc, v69
	s_wait_alu 0xfffe
	s_lshl_b64 s[6:7], s[6:7], 4
	s_wait_alu 0xfffe
	s_add_nc_u64 s[6:7], s[12:13], s[6:7]
	v_mad_co_u64_u32 v[35:36], null, s16, v39, 0
	s_wait_alu 0xfffe
	s_add_nc_u64 s[6:7], s[6:7], s[10:11]
	s_wait_loadcnt 0x0
	v_mad_co_u64_u32 v[1:2], null, s18, v5, 0
	s_delay_alu instid0(VALU_DEP_1) | instskip(SKIP_1) | instid1(VALU_DEP_2)
	v_mad_co_u64_u32 v[5:6], null, s19, v5, v[2:3]
	v_mad_co_u64_u32 v[6:7], null, s16, v0, 0
	v_dual_mov_b32 v2, v5 :: v_dual_add_nc_u32 v13, 34, v69
	v_mad_co_u64_u32 v[8:9], null, s17, v69, v[4:5]
	v_add_nc_u32_e32 v15, 51, v69
	s_delay_alu instid0(VALU_DEP_4) | instskip(NEXT) | instid1(VALU_DEP_4)
	v_mov_b32_e32 v5, v7
	v_lshlrev_b64_e32 v[1:2], 4, v[1:2]
	v_mad_co_u64_u32 v[9:10], null, s16, v13, 0
	v_mov_b32_e32 v4, v8
	s_delay_alu instid0(VALU_DEP_4) | instskip(SKIP_1) | instid1(VALU_DEP_4)
	v_mad_co_u64_u32 v[7:8], null, s17, v0, v[5:6]
	s_wait_alu 0xfffe
	v_add_co_u32 v0, vcc_lo, s6, v1
	s_delay_alu instid0(VALU_DEP_3) | instskip(SKIP_3) | instid1(VALU_DEP_3)
	v_lshlrev_b64_e32 v[3:4], 4, v[3:4]
	s_wait_alu 0xfffd
	v_add_co_ci_u32_e32 v65, vcc_lo, s7, v2, vcc_lo
	v_mad_co_u64_u32 v[11:12], null, s16, v15, 0
	v_add_co_u32 v1, vcc_lo, v0, v3
	s_wait_alu 0xfffd
	s_delay_alu instid0(VALU_DEP_3) | instskip(SKIP_2) | instid1(VALU_DEP_1)
	v_add_co_ci_u32_e32 v2, vcc_lo, v65, v4, vcc_lo
	v_lshlrev_b64_e32 v[4:5], 4, v[6:7]
	v_mov_b32_e32 v3, v10
	v_mad_co_u64_u32 v[6:7], null, s17, v13, v[3:4]
	v_mov_b32_e32 v3, v12
	v_mad_co_u64_u32 v[13:14], null, s16, v18, 0
	v_add_co_u32 v7, vcc_lo, v0, v4
	s_wait_alu 0xfffd
	v_add_co_ci_u32_e32 v8, vcc_lo, v65, v5, vcc_lo
	v_mov_b32_e32 v10, v6
	v_mad_co_u64_u32 v[15:16], null, s17, v15, v[3:4]
	v_add_nc_u32_e32 v19, 0x55, v69
	s_clause 0x1
	global_load_b128 v[1:4], v[1:2], off
	global_load_b128 v[5:8], v[7:8], off
	v_lshlrev_b64_e32 v[9:10], 4, v[9:10]
	v_mov_b32_e32 v12, v15
	v_mad_co_u64_u32 v[16:17], null, s16, v19, 0
	v_mad_co_u64_u32 v[14:15], null, s17, v18, v[14:15]
	s_delay_alu instid0(VALU_DEP_3) | instskip(SKIP_4) | instid1(VALU_DEP_1)
	v_lshlrev_b64_e32 v[11:12], 4, v[11:12]
	v_add_co_u32 v9, vcc_lo, v0, v9
	s_wait_alu 0xfffd
	v_add_co_ci_u32_e32 v10, vcc_lo, v65, v10, vcc_lo
	v_mov_b32_e32 v15, v17
	v_mad_co_u64_u32 v[17:18], null, s17, v19, v[15:16]
	v_add_co_u32 v18, vcc_lo, v0, v11
	s_wait_alu 0xfffd
	v_add_co_ci_u32_e32 v19, vcc_lo, v65, v12, vcc_lo
	v_lshlrev_b64_e32 v[11:12], 4, v[13:14]
	v_mov_b32_e32 v13, v26
	v_mad_co_u64_u32 v[27:28], null, s16, v24, 0
	v_lshlrev_b64_e32 v[14:15], 4, v[16:17]
	s_delay_alu instid0(VALU_DEP_1) | instskip(SKIP_1) | instid1(VALU_DEP_4)
	v_mad_co_u64_u32 v[16:17], null, s17, v20, v[13:14]
	v_add_co_u32 v20, vcc_lo, v0, v11
	v_mov_b32_e32 v11, v28
	s_wait_alu 0xfffd
	v_add_co_ci_u32_e32 v21, vcc_lo, v65, v12, vcc_lo
	v_add_co_u32 v22, vcc_lo, v0, v14
	v_mov_b32_e32 v26, v16
	v_mad_co_u64_u32 v[28:29], null, s17, v24, v[11:12]
	v_mov_b32_e32 v29, v34
	s_wait_alu 0xfffd
	v_add_co_ci_u32_e32 v23, vcc_lo, v65, v15, vcc_lo
	v_lshlrev_b64_e32 v[25:26], 4, v[25:26]
	s_clause 0x3
	global_load_b128 v[9:12], v[9:10], off
	global_load_b128 v[13:16], v[18:19], off
	;; [unrolled: 1-line block ×4, first 2 shown]
	v_mad_co_u64_u32 v[29:30], null, s17, v30, v[29:30]
	v_dual_mov_b32 v30, v36 :: v_dual_add_nc_u32 v43, 0xaa, v69
	v_lshlrev_b64_e32 v[27:28], 4, v[27:28]
	v_add_co_u32 v25, vcc_lo, v0, v25
	s_wait_alu 0xfffd
	v_add_co_ci_u32_e32 v26, vcc_lo, v65, v26, vcc_lo
	v_mov_b32_e32 v34, v29
	v_mad_co_u64_u32 v[37:38], null, s16, v43, 0
	v_add_co_u32 v31, vcc_lo, v0, v27
	v_add_nc_u32_e32 v45, 0xbb, v69
	s_delay_alu instid0(VALU_DEP_4)
	v_lshlrev_b64_e32 v[33:34], 4, v[33:34]
	s_wait_alu 0xfffd
	v_add_co_ci_u32_e32 v32, vcc_lo, v65, v28, vcc_lo
	v_mov_b32_e32 v36, v38
	v_mad_co_u64_u32 v[39:40], null, s17, v39, v[30:31]
	v_mad_co_u64_u32 v[41:42], null, s16, v45, 0
	s_delay_alu instid0(VALU_DEP_3) | instskip(SKIP_1) | instid1(VALU_DEP_4)
	v_mad_co_u64_u32 v[43:44], null, s17, v43, v[36:37]
	v_add_co_u32 v33, vcc_lo, v0, v33
	v_mov_b32_e32 v36, v39
	s_wait_alu 0xfffd
	v_add_co_ci_u32_e32 v34, vcc_lo, v65, v34, vcc_lo
	s_delay_alu instid0(VALU_DEP_4) | instskip(NEXT) | instid1(VALU_DEP_3)
	v_dual_mov_b32 v39, v42 :: v_dual_mov_b32 v38, v43
	v_lshlrev_b64_e32 v[35:36], 4, v[35:36]
	s_clause 0x1
	global_load_b128 v[25:28], v[25:26], off
	global_load_b128 v[29:32], v[31:32], off
	v_mad_co_u64_u32 v[42:43], null, s17, v45, v[39:40]
	v_mad_co_u64_u32 v[45:46], null, s16, v47, 0
	v_lshlrev_b64_e32 v[43:44], 4, v[37:38]
	v_add_co_u32 v35, vcc_lo, v0, v35
	s_wait_alu 0xfffd
	v_add_co_ci_u32_e32 v36, vcc_lo, v65, v36, vcc_lo
	v_lshlrev_b64_e32 v[41:42], 4, v[41:42]
	v_mad_co_u64_u32 v[46:47], null, s17, v47, v[46:47]
	v_mad_co_u64_u32 v[47:48], null, s16, v50, 0
	v_add_co_u32 v43, vcc_lo, v0, v43
	s_wait_alu 0xfffd
	v_add_co_ci_u32_e32 v44, vcc_lo, v65, v44, vcc_lo
	v_add_co_u32 v41, vcc_lo, v0, v41
	s_delay_alu instid0(VALU_DEP_4)
	v_mad_co_u64_u32 v[61:62], null, s17, v50, v[48:49]
	s_wait_alu 0xfffd
	v_add_co_ci_u32_e32 v42, vcc_lo, v65, v42, vcc_lo
	s_clause 0x1
	global_load_b128 v[37:40], v[33:34], off
	global_load_b128 v[33:36], v[35:36], off
	v_mov_b32_e32 v48, v61
	v_mad_co_u64_u32 v[62:63], null, s17, v51, v[49:50]
	v_add_nc_u32_e32 v67, 0x110, v69
	s_clause 0x1
	global_load_b128 v[57:60], v[43:44], off
	global_load_b128 v[49:52], v[41:42], off
	v_lshlrev_b64_e32 v[42:43], 4, v[45:46]
	v_dual_mov_b32 v41, v56 :: v_dual_mov_b32 v54, v62
	v_mad_co_u64_u32 v[63:64], null, s16, v67, 0
	s_delay_alu instid0(VALU_DEP_2)
	v_mad_co_u64_u32 v[44:45], null, s17, v66, v[41:42]
	v_add_co_u32 v42, vcc_lo, v0, v42
	v_lshlrev_b64_e32 v[45:46], 4, v[47:48]
	v_lshlrev_b64_e32 v[53:54], 4, v[53:54]
	v_mov_b32_e32 v41, v64
	s_wait_alu 0xfffd
	v_add_co_ci_u32_e32 v43, vcc_lo, v65, v43, vcc_lo
	v_mov_b32_e32 v56, v44
	v_add_co_u32 v44, vcc_lo, v0, v45
	v_mad_co_u64_u32 v[47:48], null, s17, v67, v[41:42]
	s_wait_alu 0xfffd
	v_add_co_ci_u32_e32 v45, vcc_lo, v65, v46, vcc_lo
	v_lshlrev_b64_e32 v[55:56], 4, v[55:56]
	v_add_co_u32 v46, vcc_lo, v0, v53
	s_delay_alu instid0(VALU_DEP_4) | instskip(SKIP_2) | instid1(VALU_DEP_4)
	v_mov_b32_e32 v64, v47
	s_wait_alu 0xfffd
	v_add_co_ci_u32_e32 v47, vcc_lo, v65, v54, vcc_lo
	v_add_co_u32 v70, vcc_lo, v0, v55
	s_delay_alu instid0(VALU_DEP_3) | instskip(SKIP_2) | instid1(VALU_DEP_2)
	v_lshlrev_b64_e32 v[53:54], 4, v[63:64]
	s_wait_alu 0xfffd
	v_add_co_ci_u32_e32 v71, vcc_lo, v65, v56, vcc_lo
	v_add_co_u32 v72, vcc_lo, v0, v53
	s_wait_alu 0xfffd
	s_delay_alu instid0(VALU_DEP_3)
	v_add_co_ci_u32_e32 v73, vcc_lo, v65, v54, vcc_lo
	s_clause 0x4
	global_load_b128 v[65:68], v[42:43], off
	global_load_b128 v[61:64], v[44:45], off
	;; [unrolled: 1-line block ×5, first 2 shown]
.LBB0_17:
	s_wait_alu 0xfffe
	s_or_b32 exec_lo, exec_lo, s8
	s_wait_loadcnt 0xf
	v_add_f64_e32 v[70:71], v[5:6], v[1:2]
	v_add_f64_e32 v[72:73], v[7:8], v[3:4]
	s_wait_loadcnt 0x7
	v_add_f64_e64 v[130:131], v[37:38], -v[33:34]
	v_add_f64_e64 v[132:133], v[39:40], -v[35:36]
	s_wait_loadcnt 0x6
	v_add_f64_e64 v[134:135], v[29:30], -v[57:58]
	v_add_f64_e64 v[136:137], v[31:32], -v[59:60]
	;; [unrolled: 3-line block ×7, first 2 shown]
	s_mov_b32 s38, 0x5d8e7cdc
	s_mov_b32 s42, 0x2a9d6da3
	;; [unrolled: 1-line block ×22, first 2 shown]
	v_add_f64_e32 v[70:71], v[9:10], v[70:71]
	v_add_f64_e32 v[72:73], v[11:12], v[72:73]
	s_mov_b32 s6, 0x910ea3b9
	s_mov_b32 s18, 0x7faef3
	;; [unrolled: 1-line block ×10, first 2 shown]
	s_wait_alu 0xfffe
	v_mul_f64_e32 v[110:111], s[36:37], v[168:169]
	v_mul_f64_e32 v[112:113], s[36:37], v[158:159]
	s_mov_b32 s57, 0x3fe0d888
	s_mov_b32 s56, s34
	;; [unrolled: 1-line block ×3, first 2 shown]
	v_mul_f64_e32 v[114:115], s[56:57], v[148:149]
	v_mul_f64_e32 v[116:117], s[56:57], v[142:143]
	s_mov_b32 s52, s28
	s_mov_b32 s47, 0x3feca52d
	s_wait_alu 0xfffe
	v_mul_f64_e32 v[118:119], s[52:53], v[140:141]
	v_mul_f64_e32 v[120:121], s[52:53], v[138:139]
	s_mov_b32 s46, s44
	s_mov_b32 s49, 0x3fd71e95
	s_wait_alu 0xfffe
	v_mul_f64_e32 v[122:123], s[46:47], v[136:137]
	v_mul_f64_e32 v[124:125], s[46:47], v[134:135]
	s_mov_b32 s48, s38
	v_mul_f64_e32 v[144:145], s[30:31], v[188:189]
	v_mul_f64_e32 v[126:127], s[48:49], v[132:133]
	;; [unrolled: 1-line block ×3, first 2 shown]
	s_mov_b32 s61, 0x3fc7851a
	s_mov_b32 s60, s36
	v_mul_f64_e32 v[154:155], s[52:53], v[168:169]
	v_mul_f64_e32 v[152:153], s[60:61], v[174:175]
	;; [unrolled: 1-line block ×3, first 2 shown]
	s_mov_b32 s51, 0x3fe58eea
	s_mov_b32 s50, s42
	v_add_f64_e32 v[70:71], v[13:14], v[70:71]
	v_add_f64_e32 v[72:73], v[15:16], v[72:73]
	s_wait_alu 0xfffe
	v_mul_f64_e32 v[160:161], s[50:51], v[148:149]
	v_mul_f64_e32 v[162:163], s[50:51], v[142:143]
	;; [unrolled: 1-line block ×18, first 2 shown]
	s_mov_b32 s59, 0x3fe9895b
	s_mov_b32 s58, s30
	v_mul_f64_e32 v[240:241], s[50:51], v[132:133]
	v_mul_f64_e32 v[236:237], s[58:59], v[136:137]
	;; [unrolled: 1-line block ×10, first 2 shown]
	s_mov_b32 s55, 0x3fefdd0d
	s_mov_b32 s54, s40
	v_add_f64_e32 v[70:71], v[17:18], v[70:71]
	v_add_f64_e32 v[72:73], v[19:20], v[72:73]
	s_delay_alu instid0(VALU_DEP_2) | instskip(NEXT) | instid1(VALU_DEP_2)
	v_add_f64_e32 v[70:71], v[21:22], v[70:71]
	v_add_f64_e32 v[72:73], v[23:24], v[72:73]
	s_delay_alu instid0(VALU_DEP_2) | instskip(NEXT) | instid1(VALU_DEP_2)
	;; [unrolled: 3-line block ×4, first 2 shown]
	v_add_f64_e32 v[74:75], v[37:38], v[70:71]
	v_add_f64_e32 v[76:77], v[39:40], v[72:73]
	;; [unrolled: 1-line block ×4, first 2 shown]
	s_delay_alu instid0(VALU_DEP_4) | instskip(NEXT) | instid1(VALU_DEP_4)
	v_add_f64_e32 v[37:38], v[33:34], v[74:75]
	v_add_f64_e32 v[39:40], v[35:36], v[76:77]
	;; [unrolled: 1-line block ×10, first 2 shown]
	s_delay_alu instid0(VALU_DEP_4) | instskip(NEXT) | instid1(VALU_DEP_4)
	v_add_f64_e32 v[25:26], v[49:50], v[37:38]
	v_add_f64_e32 v[27:28], v[51:52], v[39:40]
	;; [unrolled: 1-line block ×8, first 2 shown]
	s_delay_alu instid0(VALU_DEP_2) | instskip(NEXT) | instid1(VALU_DEP_2)
	v_add_f64_e32 v[17:18], v[61:62], v[21:22]
	v_add_f64_e32 v[19:20], v[63:64], v[23:24]
	s_delay_alu instid0(VALU_DEP_2) | instskip(NEXT) | instid1(VALU_DEP_2)
	v_add_f64_e32 v[13:14], v[53:54], v[17:18]
	v_add_f64_e32 v[15:16], v[55:56], v[19:20]
	;; [unrolled: 1-line block ×4, first 2 shown]
	s_wait_loadcnt 0x0
	v_add_f64_e64 v[19:20], v[5:6], -v[41:42]
	v_add_f64_e32 v[17:18], v[43:44], v[7:8]
	v_add_f64_e32 v[9:10], v[45:46], v[13:14]
	;; [unrolled: 1-line block ×3, first 2 shown]
	v_add_f64_e64 v[13:14], v[7:8], -v[43:44]
	v_add_f64_e32 v[15:16], v[41:42], v[5:6]
	v_mul_f64_e32 v[61:62], s[44:45], v[19:20]
	v_mul_f64_e32 v[80:81], s[40:41], v[19:20]
	v_mul_f64_e32 v[82:83], s[28:29], v[19:20]
	v_mul_f64_e32 v[84:85], s[30:31], v[19:20]
	v_mul_f64_e32 v[86:87], s[34:35], v[19:20]
	v_add_f64_e32 v[182:183], v[41:42], v[9:10]
	v_add_f64_e32 v[184:185], v[43:44], v[11:12]
	v_mul_f64_e32 v[9:10], s[38:39], v[13:14]
	v_mul_f64_e32 v[11:12], s[42:43], v[13:14]
	;; [unrolled: 1-line block ×8, first 2 shown]
	v_fma_f64 v[98:99], v[17:18], s[26:27], v[61:62]
	v_fma_f64 v[100:101], v[17:18], s[8:9], -v[80:81]
	v_fma_f64 v[80:81], v[17:18], s[8:9], v[80:81]
	v_fma_f64 v[94:95], v[17:18], s[26:27], -v[61:62]
	v_fma_f64 v[102:103], v[17:18], s[16:17], -v[82:83]
	v_fma_f64 v[82:83], v[17:18], s[16:17], v[82:83]
	v_fma_f64 v[104:105], v[17:18], s[24:25], -v[84:85]
	v_fma_f64 v[84:85], v[17:18], s[24:25], v[84:85]
	;; [unrolled: 2-line block ×3, first 2 shown]
	v_mul_f64_e32 v[61:62], s[38:39], v[136:137]
	v_fma_f64 v[43:44], v[15:16], s[10:11], v[9:10]
	v_fma_f64 v[9:10], v[15:16], s[10:11], -v[9:10]
	v_fma_f64 v[45:46], v[15:16], s[12:13], v[11:12]
	v_fma_f64 v[11:12], v[15:16], s[12:13], -v[11:12]
	;; [unrolled: 2-line block ×8, first 2 shown]
	v_mul_f64_e32 v[15:16], s[38:39], v[19:20]
	v_mul_f64_e32 v[41:42], s[42:43], v[19:20]
	;; [unrolled: 1-line block ×3, first 2 shown]
	v_add_f64_e32 v[150:151], v[3:4], v[94:95]
	v_add_f64_e32 v[190:191], v[3:4], v[100:101]
	;; [unrolled: 1-line block ×7, first 2 shown]
	v_mul_f64_e32 v[102:103], s[40:41], v[188:189]
	v_mul_f64_e32 v[104:105], s[40:41], v[186:187]
	v_add_f64_e32 v[5:6], v[1:2], v[9:10]
	v_add_f64_e32 v[9:10], v[1:2], v[45:46]
	s_wait_alu 0xfffe
	v_mul_f64_e32 v[45:46], s[54:55], v[140:141]
	v_add_f64_e32 v[146:147], v[1:2], v[47:48]
	v_mul_f64_e32 v[47:48], s[54:55], v[138:139]
	v_add_f64_e32 v[100:101], v[1:2], v[25:26]
	v_add_f64_e32 v[25:26], v[1:2], v[67:68]
	;; [unrolled: 1-line block ×7, first 2 shown]
	v_fma_f64 v[88:89], v[17:18], s[10:11], -v[15:16]
	v_fma_f64 v[15:16], v[17:18], s[10:11], v[15:16]
	v_fma_f64 v[92:93], v[17:18], s[12:13], v[41:42]
	v_fma_f64 v[90:91], v[17:18], s[12:13], -v[41:42]
	v_fma_f64 v[108:109], v[17:18], s[18:19], -v[19:20]
	v_fma_f64 v[17:18], v[17:18], s[18:19], v[19:20]
	v_add_f64_e32 v[19:20], v[1:2], v[43:44]
	v_mul_f64_e32 v[67:68], s[34:35], v[136:137]
	v_mul_f64_e32 v[74:75], s[30:31], v[176:177]
	;; [unrolled: 1-line block ×3, first 2 shown]
	v_fma_f64 v[27:28], v[57:58], s[12:13], v[248:249]
	v_mul_f64_e32 v[41:42], s[36:37], v[148:149]
	v_mul_f64_e32 v[43:44], s[36:37], v[142:143]
	scratch_store_b64 off, v[5:6], off offset:4 ; 8-byte Folded Spill
	v_add_f64_e32 v[88:89], v[3:4], v[88:89]
	v_add_f64_e32 v[5:6], v[3:4], v[15:16]
	;; [unrolled: 1-line block ×5, first 2 shown]
	v_mul_f64_e32 v[90:91], s[36:37], v[132:133]
	v_fma_f64 v[13:14], v[57:58], s[24:25], v[74:75]
	scratch_store_b64 off, v[5:6], off offset:20 ; 8-byte Folded Spill
	v_add_f64_e32 v[5:6], v[1:2], v[11:12]
	scratch_store_b64 off, v[5:6], off offset:52 ; 8-byte Folded Spill
	v_add_f64_e32 v[5:6], v[3:4], v[92:93]
	v_mul_f64_e32 v[92:93], s[36:37], v[130:131]
	scratch_store_b64 off, v[5:6], off offset:36 ; 8-byte Folded Spill
	v_add_f64_e32 v[5:6], v[1:2], v[21:22]
	v_add_f64_e32 v[21:22], v[1:2], v[63:64]
	v_mul_f64_e32 v[63:64], s[30:31], v[132:133]
	scratch_store_b64 off, v[5:6], off offset:180 ; 8-byte Folded Spill
	v_add_f64_e32 v[5:6], v[3:4], v[98:99]
	scratch_store_b64 off, v[5:6], off offset:172 ; 8-byte Folded Spill
	v_add_f64_e32 v[5:6], v[1:2], v[23:24]
	v_add_f64_e32 v[23:24], v[1:2], v[65:66]
	v_mul_f64_e32 v[0:1], s[42:43], v[188:189]
	v_mul_f64_e32 v[65:66], s[38:39], v[134:135]
	scratch_store_b64 off, v[5:6], off offset:196 ; 8-byte Folded Spill
	v_add_f64_e32 v[5:6], v[3:4], v[80:81]
	scratch_store_b64 off, v[5:6], off offset:188 ; 8-byte Folded Spill
	v_add_f64_e32 v[5:6], v[3:4], v[82:83]
	v_mul_f64_e32 v[3:4], s[42:43], v[186:187]
	scratch_store_b64 off, v[0:1], off offset:68 ; 8-byte Folded Spill
	v_fma_f64 v[1:2], v[53:54], s[12:13], v[0:1]
	scratch_store_b64 off, v[5:6], off offset:204 ; 8-byte Folded Spill
	v_mul_f64_e32 v[5:6], s[44:45], v[176:177]
	scratch_store_b64 off, v[3:4], off offset:84 ; 8-byte Folded Spill
	v_add_f64_e32 v[1:2], v[1:2], v[19:20]
	v_fma_f64 v[3:4], v[55:56], s[12:13], -v[3:4]
	v_fma_f64 v[19:20], v[55:56], s[18:19], -v[218:219]
	scratch_store_b64 off, v[5:6], off offset:92 ; 8-byte Folded Spill
	v_fma_f64 v[11:12], v[57:58], s[26:27], v[5:6]
	v_mul_f64_e32 v[5:6], s[44:45], v[174:175]
	v_add_f64_e32 v[3:4], v[3:4], v[88:89]
	v_add_f64_e32 v[19:20], v[19:20], v[190:191]
	v_mul_f64_e32 v[190:191], s[52:53], v[186:187]
	v_add_f64_e32 v[1:2], v[11:12], v[1:2]
	scratch_store_b64 off, v[5:6], off offset:108 ; 8-byte Folded Spill
	v_fma_f64 v[11:12], v[59:60], s[26:27], -v[5:6]
	v_mul_f64_e32 v[5:6], s[40:41], v[168:169]
	s_delay_alu instid0(VALU_DEP_2) | instskip(SKIP_3) | instid1(VALU_DEP_2)
	v_add_f64_e32 v[3:4], v[11:12], v[3:4]
	scratch_store_b64 off, v[5:6], off offset:116 ; 8-byte Folded Spill
	v_fma_f64 v[11:12], v[49:50], s[8:9], v[5:6]
	v_mul_f64_e32 v[5:6], s[40:41], v[158:159]
	v_add_f64_e32 v[1:2], v[11:12], v[1:2]
	scratch_store_b64 off, v[5:6], off offset:124 ; 8-byte Folded Spill
	v_fma_f64 v[11:12], v[51:52], s[8:9], -v[5:6]
	v_mul_f64_e32 v[5:6], s[28:29], v[148:149]
	s_delay_alu instid0(VALU_DEP_2) | instskip(SKIP_3) | instid1(VALU_DEP_2)
	v_add_f64_e32 v[3:4], v[11:12], v[3:4]
	scratch_store_b64 off, v[5:6], off offset:132 ; 8-byte Folded Spill
	v_fma_f64 v[11:12], v[37:38], s[16:17], v[5:6]
	;; [unrolled: 9-line block ×3, first 2 shown]
	v_mul_f64_e32 v[5:6], s[30:31], v[138:139]
	v_add_f64_e32 v[1:2], v[11:12], v[1:2]
	s_delay_alu instid0(VALU_DEP_2)
	v_fma_f64 v[11:12], v[31:32], s[24:25], -v[5:6]
	scratch_store_b64 off, v[5:6], off offset:156 ; 8-byte Folded Spill
	v_mul_f64_e32 v[5:6], s[34:35], v[134:135]
	v_add_f64_e32 v[3:4], v[11:12], v[3:4]
	v_fma_f64 v[11:12], v[33:34], s[6:7], v[67:68]
	scratch_store_b64 off, v[5:6], off offset:164 ; 8-byte Folded Spill
	v_add_f64_e32 v[1:2], v[11:12], v[1:2]
	v_fma_f64 v[11:12], v[35:36], s[6:7], -v[5:6]
	v_mul_f64_e32 v[6:7], s[42:43], v[138:139]
	s_delay_alu instid0(VALU_DEP_2) | instskip(SKIP_1) | instid1(VALU_DEP_1)
	v_add_f64_e32 v[3:4], v[11:12], v[3:4]
	v_fma_f64 v[11:12], v[70:71], s[18:19], v[90:91]
	v_add_f64_e32 v[106:107], v[11:12], v[1:2]
	v_fma_f64 v[11:12], v[72:73], s[18:19], -v[92:93]
	v_mul_f64_e32 v[0:1], s[46:47], v[132:133]
	s_delay_alu instid0(VALU_DEP_2) | instskip(SKIP_3) | instid1(VALU_DEP_3)
	v_add_f64_e32 v[108:109], v[11:12], v[3:4]
	v_fma_f64 v[11:12], v[53:54], s[8:9], v[102:103]
	v_mul_f64_e32 v[4:5], s[36:37], v[136:137]
	v_mul_f64_e32 v[2:3], s[36:37], v[134:135]
	v_add_f64_e32 v[9:10], v[11:12], v[9:10]
	v_fma_f64 v[11:12], v[55:56], s[8:9], -v[104:105]
	s_delay_alu instid0(VALU_DEP_2) | instskip(NEXT) | instid1(VALU_DEP_2)
	v_add_f64_e32 v[9:10], v[13:14], v[9:10]
	v_add_f64_e32 v[11:12], v[11:12], v[15:16]
	v_fma_f64 v[13:14], v[59:60], s[24:25], -v[76:77]
	s_delay_alu instid0(VALU_DEP_1) | instskip(SKIP_1) | instid1(VALU_DEP_1)
	v_add_f64_e32 v[11:12], v[13:14], v[11:12]
	v_fma_f64 v[13:14], v[49:50], s[18:19], v[110:111]
	v_add_f64_e32 v[9:10], v[13:14], v[9:10]
	v_fma_f64 v[13:14], v[51:52], s[18:19], -v[112:113]
	s_delay_alu instid0(VALU_DEP_1) | instskip(SKIP_1) | instid1(VALU_DEP_1)
	v_add_f64_e32 v[11:12], v[13:14], v[11:12]
	v_fma_f64 v[13:14], v[37:38], s[6:7], v[114:115]
	;; [unrolled: 5-line block ×5, first 2 shown]
	v_add_f64_e32 v[86:87], v[13:14], v[9:10]
	v_fma_f64 v[13:14], v[72:73], s[10:11], -v[128:129]
	v_mul_f64_e32 v[8:9], s[42:43], v[140:141]
	s_delay_alu instid0(VALU_DEP_2) | instskip(SKIP_2) | instid1(VALU_DEP_2)
	v_add_f64_e32 v[88:89], v[13:14], v[11:12]
	v_fma_f64 v[13:14], v[53:54], s[24:25], v[144:145]
	v_fma_f64 v[10:11], v[33:34], s[10:11], v[61:62]
	v_add_f64_e32 v[13:14], v[13:14], v[146:147]
	v_mul_f64_e32 v[146:147], s[30:31], v[186:187]
	s_delay_alu instid0(VALU_DEP_1) | instskip(NEXT) | instid1(VALU_DEP_1)
	v_fma_f64 v[15:16], v[55:56], s[24:25], -v[146:147]
	v_add_f64_e32 v[15:16], v[15:16], v[150:151]
	v_mul_f64_e32 v[150:151], s[60:61], v[176:177]
	s_delay_alu instid0(VALU_DEP_1) | instskip(NEXT) | instid1(VALU_DEP_1)
	v_fma_f64 v[17:18], v[57:58], s[18:19], v[150:151]
	v_add_f64_e32 v[13:14], v[17:18], v[13:14]
	v_fma_f64 v[17:18], v[59:60], s[18:19], -v[152:153]
	s_delay_alu instid0(VALU_DEP_1) | instskip(SKIP_1) | instid1(VALU_DEP_1)
	v_add_f64_e32 v[15:16], v[17:18], v[15:16]
	v_fma_f64 v[17:18], v[49:50], s[16:17], v[154:155]
	v_add_f64_e32 v[13:14], v[17:18], v[13:14]
	v_fma_f64 v[17:18], v[51:52], s[16:17], -v[156:157]
	s_delay_alu instid0(VALU_DEP_1) | instskip(SKIP_1) | instid1(VALU_DEP_1)
	v_add_f64_e32 v[15:16], v[17:18], v[15:16]
	;; [unrolled: 5-line block ×5, first 2 shown]
	v_fma_f64 v[17:18], v[70:71], s[6:7], v[178:179]
	v_add_f64_e32 v[82:83], v[17:18], v[13:14]
	v_fma_f64 v[17:18], v[72:73], s[6:7], -v[180:181]
	v_mul_f64_e32 v[12:13], s[54:55], v[148:149]
	s_delay_alu instid0(VALU_DEP_2) | instskip(SKIP_2) | instid1(VALU_DEP_2)
	v_add_f64_e32 v[84:85], v[17:18], v[15:16]
	v_fma_f64 v[17:18], v[53:54], s[18:19], v[216:217]
	v_fma_f64 v[14:15], v[35:36], s[10:11], -v[65:66]
	v_add_f64_e32 v[17:18], v[17:18], v[21:22]
	v_fma_f64 v[21:22], v[57:58], s[16:17], v[220:221]
	s_delay_alu instid0(VALU_DEP_1) | instskip(SKIP_1) | instid1(VALU_DEP_1)
	v_add_f64_e32 v[17:18], v[21:22], v[17:18]
	v_fma_f64 v[21:22], v[59:60], s[16:17], -v[222:223]
	v_add_f64_e32 v[19:20], v[21:22], v[19:20]
	v_fma_f64 v[21:22], v[49:50], s[10:11], v[224:225]
	s_delay_alu instid0(VALU_DEP_1) | instskip(SKIP_1) | instid1(VALU_DEP_1)
	v_add_f64_e32 v[17:18], v[21:22], v[17:18]
	;; [unrolled: 5-line block ×5, first 2 shown]
	v_fma_f64 v[21:22], v[35:36], s[24:25], -v[238:239]
	v_add_f64_e32 v[19:20], v[21:22], v[19:20]
	v_fma_f64 v[21:22], v[70:71], s[12:13], v[240:241]
	s_delay_alu instid0(VALU_DEP_1) | instskip(SKIP_2) | instid1(VALU_DEP_2)
	v_add_f64_e32 v[78:79], v[21:22], v[17:18]
	v_fma_f64 v[21:22], v[72:73], s[12:13], -v[242:243]
	v_mul_f64_e32 v[16:17], s[52:53], v[188:189]
	v_add_f64_e32 v[80:81], v[21:22], v[19:20]
	v_fma_f64 v[21:22], v[53:54], s[6:7], v[244:245]
	v_fma_f64 v[18:19], v[70:71], s[24:25], v[63:64]
	s_delay_alu instid0(VALU_DEP_2) | instskip(SKIP_1) | instid1(VALU_DEP_2)
	v_add_f64_e32 v[21:22], v[21:22], v[23:24]
	v_fma_f64 v[23:24], v[55:56], s[6:7], -v[246:247]
	v_add_f64_e32 v[21:22], v[27:28], v[21:22]
	s_delay_alu instid0(VALU_DEP_2) | instskip(SKIP_2) | instid1(VALU_DEP_2)
	v_add_f64_e32 v[23:24], v[23:24], v[192:193]
	v_fma_f64 v[27:28], v[59:60], s[12:13], -v[250:251]
	v_mul_f64_e32 v[192:193], s[38:39], v[176:177]
	v_add_f64_e32 v[23:24], v[27:28], v[23:24]
	v_fma_f64 v[27:28], v[49:50], s[26:27], v[252:253]
	s_delay_alu instid0(VALU_DEP_1) | instskip(SKIP_1) | instid1(VALU_DEP_1)
	v_add_f64_e32 v[21:22], v[27:28], v[21:22]
	v_fma_f64 v[27:28], v[51:52], s[26:27], -v[254:255]
	v_add_f64_e32 v[23:24], v[27:28], v[23:24]
	v_fma_f64 v[27:28], v[37:38], s[18:19], v[41:42]
	s_delay_alu instid0(VALU_DEP_1) | instskip(SKIP_1) | instid1(VALU_DEP_1)
	v_add_f64_e32 v[21:22], v[27:28], v[21:22]
	v_fma_f64 v[27:28], v[39:40], s[18:19], -v[43:44]
	v_add_f64_e32 v[23:24], v[27:28], v[23:24]
	v_fma_f64 v[27:28], v[29:30], s[8:9], v[45:46]
	s_delay_alu instid0(VALU_DEP_1) | instskip(SKIP_1) | instid1(VALU_DEP_2)
	v_add_f64_e32 v[21:22], v[27:28], v[21:22]
	v_fma_f64 v[27:28], v[31:32], s[8:9], -v[47:48]
	v_add_f64_e32 v[10:11], v[10:11], v[21:22]
	s_delay_alu instid0(VALU_DEP_2) | instskip(SKIP_2) | instid1(VALU_DEP_4)
	v_add_f64_e32 v[23:24], v[27:28], v[23:24]
	v_mul_f64_e32 v[20:21], s[30:31], v[130:131]
	v_fma_f64 v[27:28], v[57:58], s[10:11], v[192:193]
	v_add_f64_e32 v[212:213], v[18:19], v[10:11]
	s_delay_alu instid0(VALU_DEP_4) | instskip(NEXT) | instid1(VALU_DEP_4)
	v_add_f64_e32 v[14:15], v[14:15], v[23:24]
	v_fma_f64 v[18:19], v[72:73], s[24:25], -v[20:21]
	v_mul_f64_e32 v[10:11], s[54:55], v[142:143]
	s_delay_alu instid0(VALU_DEP_2) | instskip(SKIP_3) | instid1(VALU_DEP_3)
	v_add_f64_e32 v[214:215], v[18:19], v[14:15]
	v_fma_f64 v[18:19], v[53:54], s[16:17], v[16:17]
	v_mul_f64_e32 v[14:15], s[34:35], v[168:169]
	v_fma_f64 v[16:17], v[53:54], s[16:17], -v[16:17]
	v_add_f64_e32 v[18:19], v[18:19], v[25:26]
	v_fma_f64 v[25:26], v[55:56], s[16:17], -v[190:191]
	s_delay_alu instid0(VALU_DEP_4) | instskip(NEXT) | instid1(VALU_DEP_4)
	v_fma_f64 v[22:23], v[49:50], s[6:7], v[14:15]
	v_add_f64_e32 v[16:17], v[16:17], v[196:197]
	v_fma_f64 v[14:15], v[49:50], s[6:7], -v[14:15]
	v_add_f64_e32 v[18:19], v[27:28], v[18:19]
	v_add_f64_e32 v[25:26], v[25:26], v[194:195]
	v_mul_f64_e32 v[194:195], s[38:39], v[174:175]
	s_delay_alu instid0(VALU_DEP_3) | instskip(SKIP_1) | instid1(VALU_DEP_3)
	v_add_f64_e32 v[18:19], v[22:23], v[18:19]
	v_mul_f64_e32 v[22:23], s[34:35], v[158:159]
	v_fma_f64 v[27:28], v[59:60], s[10:11], -v[194:195]
	s_delay_alu instid0(VALU_DEP_1) | instskip(NEXT) | instid1(VALU_DEP_3)
	v_add_f64_e32 v[25:26], v[27:28], v[25:26]
	v_fma_f64 v[27:28], v[51:52], s[6:7], -v[22:23]
	s_delay_alu instid0(VALU_DEP_1) | instskip(SKIP_2) | instid1(VALU_DEP_2)
	v_add_f64_e32 v[24:25], v[27:28], v[25:26]
	v_fma_f64 v[26:27], v[37:38], s[8:9], v[12:13]
	v_fma_f64 v[12:13], v[37:38], s[8:9], -v[12:13]
	v_add_f64_e32 v[18:19], v[26:27], v[18:19]
	v_fma_f64 v[26:27], v[39:40], s[8:9], -v[10:11]
	v_fma_f64 v[10:11], v[39:40], s[8:9], v[10:11]
	s_delay_alu instid0(VALU_DEP_2) | instskip(SKIP_2) | instid1(VALU_DEP_2)
	v_add_f64_e32 v[24:25], v[26:27], v[24:25]
	v_fma_f64 v[26:27], v[29:30], s[12:13], v[8:9]
	v_fma_f64 v[8:9], v[29:30], s[12:13], -v[8:9]
	v_add_f64_e32 v[18:19], v[26:27], v[18:19]
	v_fma_f64 v[26:27], v[31:32], s[12:13], -v[6:7]
	v_fma_f64 v[6:7], v[31:32], s[12:13], v[6:7]
	s_delay_alu instid0(VALU_DEP_2) | instskip(SKIP_2) | instid1(VALU_DEP_2)
	;; [unrolled: 7-line block ×3, first 2 shown]
	v_add_f64_e32 v[27:28], v[26:27], v[24:25]
	v_fma_f64 v[24:25], v[70:71], s[26:27], v[0:1]
	v_fma_f64 v[0:1], v[70:71], s[26:27], -v[0:1]
	v_add_f64_e32 v[25:26], v[24:25], v[18:19]
	v_mul_f64_e32 v[18:19], s[46:47], v[130:131]
	s_delay_alu instid0(VALU_DEP_1) | instskip(NEXT) | instid1(VALU_DEP_1)
	v_fma_f64 v[98:99], v[72:73], s[26:27], -v[18:19]
	v_add_f64_e32 v[27:28], v[98:99], v[27:28]
	v_fma_f64 v[98:99], v[55:56], s[16:17], v[190:191]
	v_fma_f64 v[190:191], v[57:58], s[10:11], -v[192:193]
	s_delay_alu instid0(VALU_DEP_2) | instskip(NEXT) | instid1(VALU_DEP_2)
	v_add_f64_e32 v[98:99], v[98:99], v[198:199]
	v_add_f64_e32 v[16:17], v[190:191], v[16:17]
	v_fma_f64 v[190:191], v[59:60], s[10:11], v[194:195]
	v_mul_f64_e32 v[198:199], s[50:51], v[136:137]
	v_mul_f64_e32 v[136:137], s[28:29], v[136:137]
	s_delay_alu instid0(VALU_DEP_4) | instskip(NEXT) | instid1(VALU_DEP_4)
	v_add_f64_e32 v[14:15], v[14:15], v[16:17]
	v_add_f64_e32 v[98:99], v[190:191], v[98:99]
	v_fma_f64 v[16:17], v[51:52], s[6:7], v[22:23]
	s_delay_alu instid0(VALU_DEP_3) | instskip(NEXT) | instid1(VALU_DEP_2)
	v_add_f64_e32 v[12:13], v[12:13], v[14:15]
	v_add_f64_e32 v[16:17], v[16:17], v[98:99]
	s_delay_alu instid0(VALU_DEP_2) | instskip(NEXT) | instid1(VALU_DEP_2)
	v_add_f64_e32 v[8:9], v[8:9], v[12:13]
	v_add_f64_e32 v[10:11], v[10:11], v[16:17]
	s_delay_alu instid0(VALU_DEP_2) | instskip(SKIP_1) | instid1(VALU_DEP_3)
	v_add_f64_e32 v[4:5], v[4:5], v[8:9]
	v_mul_f64_e32 v[8:9], s[40:41], v[176:177]
	v_add_f64_e32 v[6:7], v[6:7], v[10:11]
	s_delay_alu instid0(VALU_DEP_3) | instskip(SKIP_1) | instid1(VALU_DEP_3)
	v_add_f64_e32 v[190:191], v[0:1], v[4:5]
	v_mul_f64_e32 v[0:1], s[46:47], v[188:189]
	v_add_f64_e32 v[2:3], v[2:3], v[6:7]
	v_fma_f64 v[6:7], v[72:73], s[26:27], v[18:19]
	v_mul_f64_e32 v[4:5], s[46:47], v[186:187]
	v_fma_f64 v[10:11], v[57:58], s[8:9], v[8:9]
	s_delay_alu instid0(VALU_DEP_3) | instskip(SKIP_1) | instid1(VALU_DEP_4)
	v_add_f64_e32 v[192:193], v[6:7], v[2:3]
	v_fma_f64 v[2:3], v[53:54], s[26:27], v[0:1]
	v_fma_f64 v[6:7], v[55:56], s[26:27], -v[4:5]
	v_fma_f64 v[0:1], v[53:54], s[26:27], -v[0:1]
	v_fma_f64 v[4:5], v[55:56], s[26:27], v[4:5]
	s_delay_alu instid0(VALU_DEP_4) | instskip(NEXT) | instid1(VALU_DEP_4)
	v_add_f64_e32 v[2:3], v[2:3], v[200:201]
	v_add_f64_e32 v[6:7], v[6:7], v[202:203]
	v_mul_f64_e32 v[200:201], s[50:51], v[134:135]
	v_mul_f64_e32 v[202:203], s[28:29], v[132:133]
	v_add_f64_e32 v[0:1], v[0:1], v[204:205]
	v_add_f64_e32 v[4:5], v[4:5], v[206:207]
	v_mul_f64_e32 v[134:135], s[28:29], v[134:135]
	v_add_f64_e32 v[2:3], v[10:11], v[2:3]
	v_mul_f64_e32 v[10:11], s[40:41], v[174:175]
	s_delay_alu instid0(VALU_DEP_1) | instskip(NEXT) | instid1(VALU_DEP_1)
	v_fma_f64 v[12:13], v[59:60], s[8:9], -v[10:11]
	v_add_f64_e32 v[6:7], v[12:13], v[6:7]
	v_mul_f64_e32 v[12:13], s[58:59], v[168:169]
	s_delay_alu instid0(VALU_DEP_1) | instskip(NEXT) | instid1(VALU_DEP_1)
	v_fma_f64 v[14:15], v[49:50], s[24:25], v[12:13]
	v_add_f64_e32 v[2:3], v[14:15], v[2:3]
	v_mul_f64_e32 v[14:15], s[58:59], v[158:159]
	s_delay_alu instid0(VALU_DEP_1) | instskip(NEXT) | instid1(VALU_DEP_1)
	v_fma_f64 v[16:17], v[51:52], s[24:25], -v[14:15]
	v_add_f64_e32 v[6:7], v[16:17], v[6:7]
	v_mul_f64_e32 v[16:17], s[38:39], v[148:149]
	s_delay_alu instid0(VALU_DEP_1) | instskip(NEXT) | instid1(VALU_DEP_1)
	v_fma_f64 v[18:19], v[37:38], s[10:11], v[16:17]
	;; [unrolled: 8-line block ×3, first 2 shown]
	v_add_f64_e32 v[2:3], v[98:99], v[2:3]
	v_mul_f64_e32 v[98:99], s[36:37], v[138:139]
	s_delay_alu instid0(VALU_DEP_1) | instskip(NEXT) | instid1(VALU_DEP_1)
	v_fma_f64 v[194:195], v[31:32], s[18:19], -v[98:99]
	v_add_f64_e32 v[6:7], v[194:195], v[6:7]
	v_fma_f64 v[194:195], v[33:34], s[12:13], v[198:199]
	s_delay_alu instid0(VALU_DEP_1) | instskip(SKIP_1) | instid1(VALU_DEP_1)
	v_add_f64_e32 v[2:3], v[194:195], v[2:3]
	v_fma_f64 v[194:195], v[35:36], s[12:13], -v[200:201]
	v_add_f64_e32 v[6:7], v[194:195], v[6:7]
	v_fma_f64 v[194:195], v[70:71], s[16:17], v[202:203]
	s_delay_alu instid0(VALU_DEP_1) | instskip(SKIP_1) | instid1(VALU_DEP_1)
	v_add_f64_e32 v[194:195], v[194:195], v[2:3]
	v_mul_f64_e32 v[2:3], s[28:29], v[130:131]
	v_fma_f64 v[196:197], v[72:73], s[16:17], -v[2:3]
	v_fma_f64 v[2:3], v[72:73], s[16:17], v[2:3]
	s_delay_alu instid0(VALU_DEP_2) | instskip(SKIP_2) | instid1(VALU_DEP_2)
	v_add_f64_e32 v[196:197], v[196:197], v[6:7]
	v_fma_f64 v[6:7], v[57:58], s[8:9], -v[8:9]
	v_mul_f64_e32 v[8:9], s[34:35], v[176:177]
	v_add_f64_e32 v[0:1], v[6:7], v[0:1]
	v_fma_f64 v[6:7], v[59:60], s[8:9], v[10:11]
	s_delay_alu instid0(VALU_DEP_3) | instskip(NEXT) | instid1(VALU_DEP_2)
	v_fma_f64 v[10:11], v[57:58], s[6:7], v[8:9]
	v_add_f64_e32 v[4:5], v[6:7], v[4:5]
	v_fma_f64 v[6:7], v[49:50], s[24:25], -v[12:13]
	s_delay_alu instid0(VALU_DEP_1) | instskip(SKIP_1) | instid1(VALU_DEP_1)
	v_add_f64_e32 v[0:1], v[6:7], v[0:1]
	v_fma_f64 v[6:7], v[51:52], s[24:25], v[14:15]
	v_add_f64_e32 v[4:5], v[6:7], v[4:5]
	v_fma_f64 v[6:7], v[37:38], s[10:11], -v[16:17]
	s_delay_alu instid0(VALU_DEP_1) | instskip(SKIP_1) | instid1(VALU_DEP_1)
	v_add_f64_e32 v[0:1], v[6:7], v[0:1]
	;; [unrolled: 5-line block ×4, first 2 shown]
	v_fma_f64 v[6:7], v[35:36], s[12:13], v[200:201]
	v_add_f64_e32 v[4:5], v[6:7], v[4:5]
	v_fma_f64 v[6:7], v[70:71], s[16:17], -v[202:203]
	s_delay_alu instid0(VALU_DEP_2) | instskip(NEXT) | instid1(VALU_DEP_2)
	v_add_f64_e32 v[200:201], v[2:3], v[4:5]
	v_add_f64_e32 v[198:199], v[6:7], v[0:1]
	v_mul_f64_e32 v[0:1], s[48:49], v[188:189]
	v_mul_f64_e32 v[4:5], s[48:49], v[186:187]
	s_delay_alu instid0(VALU_DEP_2) | instskip(NEXT) | instid1(VALU_DEP_2)
	v_fma_f64 v[2:3], v[53:54], s[10:11], v[0:1]
	v_fma_f64 v[6:7], v[55:56], s[10:11], -v[4:5]
	v_fma_f64 v[0:1], v[53:54], s[10:11], -v[0:1]
	s_delay_alu instid0(VALU_DEP_3) | instskip(NEXT) | instid1(VALU_DEP_3)
	v_add_f64_e32 v[2:3], v[2:3], v[208:209]
	v_add_f64_e32 v[6:7], v[6:7], v[210:211]
	s_delay_alu instid0(VALU_DEP_3) | instskip(NEXT) | instid1(VALU_DEP_3)
	v_add_f64_e32 v[0:1], v[0:1], v[94:95]
	v_add_f64_e32 v[2:3], v[10:11], v[2:3]
	v_mul_f64_e32 v[10:11], s[34:35], v[174:175]
	s_delay_alu instid0(VALU_DEP_1) | instskip(NEXT) | instid1(VALU_DEP_1)
	v_fma_f64 v[12:13], v[59:60], s[6:7], -v[10:11]
	v_add_f64_e32 v[6:7], v[12:13], v[6:7]
	v_mul_f64_e32 v[12:13], s[50:51], v[168:169]
	s_delay_alu instid0(VALU_DEP_1) | instskip(NEXT) | instid1(VALU_DEP_1)
	v_fma_f64 v[14:15], v[49:50], s[12:13], v[12:13]
	v_add_f64_e32 v[2:3], v[14:15], v[2:3]
	v_mul_f64_e32 v[14:15], s[50:51], v[158:159]
	s_delay_alu instid0(VALU_DEP_1) | instskip(NEXT) | instid1(VALU_DEP_1)
	v_fma_f64 v[16:17], v[51:52], s[12:13], -v[14:15]
	v_add_f64_e32 v[6:7], v[16:17], v[6:7]
	v_mul_f64_e32 v[16:17], s[30:31], v[148:149]
	s_delay_alu instid0(VALU_DEP_1) | instskip(NEXT) | instid1(VALU_DEP_1)
	v_fma_f64 v[18:19], v[37:38], s[24:25], v[16:17]
	v_add_f64_e32 v[2:3], v[18:19], v[2:3]
	v_mul_f64_e32 v[18:19], s[30:31], v[142:143]
	s_delay_alu instid0(VALU_DEP_1) | instskip(NEXT) | instid1(VALU_DEP_1)
	v_fma_f64 v[22:23], v[39:40], s[24:25], -v[18:19]
	v_add_f64_e32 v[6:7], v[22:23], v[6:7]
	v_mul_f64_e32 v[22:23], s[46:47], v[140:141]
	v_mul_f64_e32 v[140:141], s[54:55], v[130:131]
	s_delay_alu instid0(VALU_DEP_2) | instskip(NEXT) | instid1(VALU_DEP_1)
	v_fma_f64 v[98:99], v[29:30], s[26:27], v[22:23]
	v_add_f64_e32 v[2:3], v[98:99], v[2:3]
	v_mul_f64_e32 v[98:99], s[46:47], v[138:139]
	s_delay_alu instid0(VALU_DEP_1) | instskip(NEXT) | instid1(VALU_DEP_1)
	v_fma_f64 v[138:139], v[31:32], s[26:27], -v[98:99]
	v_add_f64_e32 v[6:7], v[138:139], v[6:7]
	v_fma_f64 v[138:139], v[33:34], s[16:17], v[136:137]
	s_delay_alu instid0(VALU_DEP_1) | instskip(SKIP_1) | instid1(VALU_DEP_1)
	v_add_f64_e32 v[2:3], v[138:139], v[2:3]
	v_fma_f64 v[138:139], v[35:36], s[16:17], -v[134:135]
	v_add_f64_e32 v[6:7], v[138:139], v[6:7]
	v_mul_f64_e32 v[138:139], s[54:55], v[132:133]
	s_delay_alu instid0(VALU_DEP_1) | instskip(NEXT) | instid1(VALU_DEP_1)
	v_fma_f64 v[130:131], v[70:71], s[8:9], v[138:139]
	v_add_f64_e32 v[130:131], v[130:131], v[2:3]
	v_fma_f64 v[2:3], v[72:73], s[8:9], -v[140:141]
	s_delay_alu instid0(VALU_DEP_1) | instskip(SKIP_3) | instid1(VALU_DEP_3)
	v_add_f64_e32 v[132:133], v[2:3], v[6:7]
	v_fma_f64 v[2:3], v[55:56], s[10:11], v[4:5]
	v_fma_f64 v[4:5], v[57:58], s[6:7], -v[8:9]
	v_fma_f64 v[6:7], v[72:73], s[8:9], v[140:141]
	v_add_f64_e32 v[2:3], v[2:3], v[96:97]
	s_delay_alu instid0(VALU_DEP_3) | instskip(SKIP_1) | instid1(VALU_DEP_1)
	v_add_f64_e32 v[0:1], v[4:5], v[0:1]
	v_fma_f64 v[4:5], v[59:60], s[6:7], v[10:11]
	v_add_f64_e32 v[2:3], v[4:5], v[2:3]
	v_fma_f64 v[4:5], v[49:50], s[12:13], -v[12:13]
	s_delay_alu instid0(VALU_DEP_1) | instskip(SKIP_1) | instid1(VALU_DEP_1)
	v_add_f64_e32 v[0:1], v[4:5], v[0:1]
	v_fma_f64 v[4:5], v[51:52], s[12:13], v[14:15]
	v_add_f64_e32 v[2:3], v[4:5], v[2:3]
	v_fma_f64 v[4:5], v[37:38], s[24:25], -v[16:17]
	s_delay_alu instid0(VALU_DEP_1) | instskip(SKIP_1) | instid1(VALU_DEP_1)
	;; [unrolled: 5-line block ×4, first 2 shown]
	v_add_f64_e32 v[0:1], v[4:5], v[0:1]
	v_fma_f64 v[4:5], v[35:36], s[16:17], v[134:135]
	v_add_f64_e32 v[2:3], v[4:5], v[2:3]
	v_fma_f64 v[4:5], v[70:71], s[8:9], -v[138:139]
	s_delay_alu instid0(VALU_DEP_2) | instskip(NEXT) | instid1(VALU_DEP_2)
	v_add_f64_e32 v[136:137], v[6:7], v[2:3]
	v_add_f64_e32 v[134:135], v[4:5], v[0:1]
	scratch_load_b64 v[4:5], off, off offset:204 th:TH_LOAD_LU ; 8-byte Folded Reload
	v_fma_f64 v[0:1], v[53:54], s[6:7], -v[244:245]
	v_fma_f64 v[2:3], v[55:56], s[6:7], v[246:247]
	v_fma_f64 v[6:7], v[72:73], s[24:25], v[20:21]
	s_delay_alu instid0(VALU_DEP_3) | instskip(SKIP_1) | instid1(VALU_DEP_3)
	v_add_f64_e32 v[0:1], v[0:1], v[100:101]
	s_wait_loadcnt 0x0
	v_add_f64_e32 v[2:3], v[2:3], v[4:5]
	v_fma_f64 v[4:5], v[57:58], s[12:13], -v[248:249]
	s_delay_alu instid0(VALU_DEP_1) | instskip(SKIP_1) | instid1(VALU_DEP_1)
	v_add_f64_e32 v[0:1], v[4:5], v[0:1]
	v_fma_f64 v[4:5], v[59:60], s[12:13], v[250:251]
	v_add_f64_e32 v[2:3], v[4:5], v[2:3]
	v_fma_f64 v[4:5], v[49:50], s[26:27], -v[252:253]
	s_delay_alu instid0(VALU_DEP_1) | instskip(SKIP_1) | instid1(VALU_DEP_1)
	v_add_f64_e32 v[0:1], v[4:5], v[0:1]
	v_fma_f64 v[4:5], v[51:52], s[26:27], v[254:255]
	v_add_f64_e32 v[2:3], v[4:5], v[2:3]
	v_fma_f64 v[4:5], v[37:38], s[18:19], -v[41:42]
	s_delay_alu instid0(VALU_DEP_1) | instskip(SKIP_1) | instid1(VALU_DEP_1)
	v_add_f64_e32 v[0:1], v[4:5], v[0:1]
	v_fma_f64 v[4:5], v[39:40], s[18:19], v[43:44]
	v_add_f64_e32 v[2:3], v[4:5], v[2:3]
	v_fma_f64 v[4:5], v[29:30], s[8:9], -v[45:46]
	s_delay_alu instid0(VALU_DEP_1) | instskip(SKIP_1) | instid1(VALU_DEP_1)
	v_add_f64_e32 v[0:1], v[4:5], v[0:1]
	v_fma_f64 v[4:5], v[31:32], s[8:9], v[47:48]
	v_add_f64_e32 v[2:3], v[4:5], v[2:3]
	v_fma_f64 v[4:5], v[33:34], s[10:11], -v[61:62]
	s_delay_alu instid0(VALU_DEP_1) | instskip(SKIP_1) | instid1(VALU_DEP_1)
	v_add_f64_e32 v[0:1], v[4:5], v[0:1]
	v_fma_f64 v[4:5], v[35:36], s[10:11], v[65:66]
	v_add_f64_e32 v[2:3], v[4:5], v[2:3]
	v_fma_f64 v[4:5], v[70:71], s[24:25], -v[63:64]
	s_delay_alu instid0(VALU_DEP_2)
	v_add_f64_e32 v[140:141], v[6:7], v[2:3]
	scratch_load_b64 v[2:3], off, off offset:196 th:TH_LOAD_LU ; 8-byte Folded Reload
	v_add_f64_e32 v[138:139], v[4:5], v[0:1]
	scratch_load_b64 v[4:5], off, off offset:188 th:TH_LOAD_LU ; 8-byte Folded Reload
	v_fma_f64 v[0:1], v[53:54], s[18:19], -v[216:217]
	v_fma_f64 v[6:7], v[72:73], s[12:13], v[242:243]
	s_wait_loadcnt 0x1
	s_delay_alu instid0(VALU_DEP_2) | instskip(SKIP_2) | instid1(VALU_DEP_1)
	v_add_f64_e32 v[0:1], v[0:1], v[2:3]
	v_fma_f64 v[2:3], v[55:56], s[18:19], v[218:219]
	s_wait_loadcnt 0x0
	v_add_f64_e32 v[2:3], v[2:3], v[4:5]
	v_fma_f64 v[4:5], v[57:58], s[16:17], -v[220:221]
	s_delay_alu instid0(VALU_DEP_1) | instskip(SKIP_1) | instid1(VALU_DEP_1)
	v_add_f64_e32 v[0:1], v[4:5], v[0:1]
	v_fma_f64 v[4:5], v[59:60], s[16:17], v[222:223]
	v_add_f64_e32 v[2:3], v[4:5], v[2:3]
	v_fma_f64 v[4:5], v[49:50], s[10:11], -v[224:225]
	s_delay_alu instid0(VALU_DEP_1) | instskip(SKIP_1) | instid1(VALU_DEP_1)
	v_add_f64_e32 v[0:1], v[4:5], v[0:1]
	v_fma_f64 v[4:5], v[51:52], s[10:11], v[226:227]
	v_add_f64_e32 v[2:3], v[4:5], v[2:3]
	v_fma_f64 v[4:5], v[37:38], s[26:27], -v[228:229]
	s_delay_alu instid0(VALU_DEP_1) | instskip(SKIP_1) | instid1(VALU_DEP_1)
	v_add_f64_e32 v[0:1], v[4:5], v[0:1]
	v_fma_f64 v[4:5], v[39:40], s[26:27], v[230:231]
	v_add_f64_e32 v[2:3], v[4:5], v[2:3]
	v_fma_f64 v[4:5], v[29:30], s[6:7], -v[232:233]
	s_delay_alu instid0(VALU_DEP_1) | instskip(SKIP_1) | instid1(VALU_DEP_1)
	v_add_f64_e32 v[0:1], v[4:5], v[0:1]
	v_fma_f64 v[4:5], v[31:32], s[6:7], v[234:235]
	v_add_f64_e32 v[2:3], v[4:5], v[2:3]
	v_fma_f64 v[4:5], v[33:34], s[24:25], -v[236:237]
	s_delay_alu instid0(VALU_DEP_1) | instskip(SKIP_1) | instid1(VALU_DEP_1)
	v_add_f64_e32 v[0:1], v[4:5], v[0:1]
	v_fma_f64 v[4:5], v[35:36], s[24:25], v[238:239]
	v_add_f64_e32 v[2:3], v[4:5], v[2:3]
	v_fma_f64 v[4:5], v[70:71], s[12:13], -v[240:241]
	s_delay_alu instid0(VALU_DEP_2)
	v_add_f64_e32 v[100:101], v[6:7], v[2:3]
	scratch_load_b64 v[2:3], off, off offset:180 th:TH_LOAD_LU ; 8-byte Folded Reload
	v_add_f64_e32 v[98:99], v[4:5], v[0:1]
	scratch_load_b64 v[4:5], off, off offset:172 th:TH_LOAD_LU ; 8-byte Folded Reload
	v_fma_f64 v[0:1], v[53:54], s[24:25], -v[144:145]
	v_fma_f64 v[6:7], v[72:73], s[6:7], v[180:181]
	s_wait_loadcnt 0x1
	s_delay_alu instid0(VALU_DEP_2) | instskip(SKIP_2) | instid1(VALU_DEP_1)
	v_add_f64_e32 v[0:1], v[0:1], v[2:3]
	v_fma_f64 v[2:3], v[55:56], s[24:25], v[146:147]
	;; [unrolled: 39-line block ×3, first 2 shown]
	s_wait_loadcnt 0x0
	v_add_f64_e32 v[2:3], v[2:3], v[4:5]
	v_fma_f64 v[4:5], v[57:58], s[24:25], -v[74:75]
	s_delay_alu instid0(VALU_DEP_1) | instskip(SKIP_1) | instid1(VALU_DEP_1)
	v_add_f64_e32 v[0:1], v[4:5], v[0:1]
	v_fma_f64 v[4:5], v[59:60], s[24:25], v[76:77]
	v_add_f64_e32 v[2:3], v[4:5], v[2:3]
	v_fma_f64 v[4:5], v[49:50], s[18:19], -v[110:111]
	s_delay_alu instid0(VALU_DEP_1) | instskip(SKIP_1) | instid1(VALU_DEP_1)
	v_add_f64_e32 v[0:1], v[4:5], v[0:1]
	v_fma_f64 v[4:5], v[51:52], s[18:19], v[112:113]
	;; [unrolled: 5-line block ×5, first 2 shown]
	v_add_f64_e32 v[2:3], v[4:5], v[2:3]
	v_fma_f64 v[4:5], v[70:71], s[10:11], -v[126:127]
	s_delay_alu instid0(VALU_DEP_2) | instskip(NEXT) | instid1(VALU_DEP_2)
	v_add_f64_e32 v[104:105], v[6:7], v[2:3]
	v_add_f64_e32 v[102:103], v[4:5], v[0:1]
	s_clause 0x3
	scratch_load_b64 v[0:1], off, off offset:68 th:TH_LOAD_LU
	scratch_load_b64 v[4:5], off, off offset:4 th:TH_LOAD_LU
	;; [unrolled: 1-line block ×4, first 2 shown]
	s_wait_loadcnt 0x3
	v_fma_f64 v[0:1], v[53:54], s[12:13], -v[0:1]
	s_wait_loadcnt 0x2
	s_delay_alu instid0(VALU_DEP_1) | instskip(SKIP_4) | instid1(VALU_DEP_1)
	v_add_f64_e32 v[0:1], v[0:1], v[4:5]
	scratch_load_b64 v[4:5], off, off offset:20 th:TH_LOAD_LU ; 8-byte Folded Reload
	s_wait_loadcnt 0x2
	v_fma_f64 v[2:3], v[55:56], s[12:13], v[2:3]
	s_wait_loadcnt 0x0
	v_add_f64_e32 v[2:3], v[2:3], v[4:5]
	scratch_load_b64 v[4:5], off, off offset:92 th:TH_LOAD_LU ; 8-byte Folded Reload
	s_wait_loadcnt 0x0
	v_fma_f64 v[4:5], v[57:58], s[26:27], -v[4:5]
	s_delay_alu instid0(VALU_DEP_1) | instskip(SKIP_3) | instid1(VALU_DEP_1)
	v_add_f64_e32 v[0:1], v[4:5], v[0:1]
	scratch_load_b64 v[4:5], off, off offset:116 th:TH_LOAD_LU ; 8-byte Folded Reload
	s_wait_loadcnt 0x0
	v_fma_f64 v[4:5], v[49:50], s[8:9], -v[4:5]
	v_add_f64_e32 v[0:1], v[4:5], v[0:1]
	scratch_load_b64 v[4:5], off, off offset:132 th:TH_LOAD_LU ; 8-byte Folded Reload
	s_wait_loadcnt 0x0
	v_fma_f64 v[4:5], v[37:38], s[16:17], -v[4:5]
	s_delay_alu instid0(VALU_DEP_1) | instskip(SKIP_3) | instid1(VALU_DEP_1)
	v_add_f64_e32 v[0:1], v[4:5], v[0:1]
	scratch_load_b64 v[4:5], off, off offset:148 th:TH_LOAD_LU ; 8-byte Folded Reload
	s_wait_loadcnt 0x0
	v_fma_f64 v[4:5], v[29:30], s[24:25], -v[4:5]
	v_add_f64_e32 v[0:1], v[4:5], v[0:1]
	v_fma_f64 v[4:5], v[33:34], s[6:7], -v[67:68]
	s_delay_alu instid0(VALU_DEP_1) | instskip(SKIP_1) | instid1(VALU_DEP_1)
	v_add_f64_e32 v[0:1], v[4:5], v[0:1]
	v_fma_f64 v[4:5], v[70:71], s[18:19], -v[90:91]
	v_add_f64_e32 v[29:30], v[4:5], v[0:1]
	scratch_load_b32 v1, off, off           ; 4-byte Folded Reload
	v_fma_f64 v[6:7], v[59:60], s[26:27], v[6:7]
	v_mul_u32_u24_e32 v0, 0x770, v69
	s_delay_alu instid0(VALU_DEP_2) | instskip(SKIP_3) | instid1(VALU_DEP_1)
	v_add_f64_e32 v[2:3], v[6:7], v[2:3]
	scratch_load_b64 v[6:7], off, off offset:124 th:TH_LOAD_LU ; 8-byte Folded Reload
	s_wait_loadcnt 0x1
	v_lshlrev_b32_e32 v49, 4, v1
	v_add3_u32 v0, 0, v0, v49
	s_wait_loadcnt 0x0
	v_fma_f64 v[6:7], v[51:52], s[8:9], v[6:7]
	s_delay_alu instid0(VALU_DEP_1) | instskip(SKIP_3) | instid1(VALU_DEP_1)
	v_add_f64_e32 v[2:3], v[6:7], v[2:3]
	scratch_load_b64 v[6:7], off, off offset:140 th:TH_LOAD_LU ; 8-byte Folded Reload
	s_wait_loadcnt 0x0
	v_fma_f64 v[6:7], v[39:40], s[16:17], v[6:7]
	v_add_f64_e32 v[2:3], v[6:7], v[2:3]
	scratch_load_b64 v[6:7], off, off offset:156 th:TH_LOAD_LU ; 8-byte Folded Reload
	s_wait_loadcnt 0x0
	v_fma_f64 v[6:7], v[31:32], s[24:25], v[6:7]
	s_delay_alu instid0(VALU_DEP_1)
	v_add_f64_e32 v[2:3], v[6:7], v[2:3]
	scratch_load_b64 v[6:7], off, off offset:164 th:TH_LOAD_LU ; 8-byte Folded Reload
	ds_store_b128 v0, v[182:185]
	ds_store_b128 v0, v[106:109] offset:112
	s_load_b64 s[62:63], s[62:63], 0x0
	s_wait_loadcnt 0x0
	v_fma_f64 v[6:7], v[35:36], s[6:7], v[6:7]
	s_delay_alu instid0(VALU_DEP_1) | instskip(SKIP_1) | instid1(VALU_DEP_1)
	v_add_f64_e32 v[2:3], v[6:7], v[2:3]
	v_fma_f64 v[6:7], v[72:73], s[18:19], v[92:93]
	v_add_f64_e32 v[31:32], v[6:7], v[2:3]
	ds_store_b128 v0, v[86:89] offset:224
	ds_store_b128 v0, v[82:85] offset:336
	;; [unrolled: 1-line block ×15, first 2 shown]
	global_wb scope:SCOPE_SE
	s_wait_storecnt_dscnt 0x0
	s_wait_kmcnt 0x0
	s_barrier_signal -1
	s_barrier_wait -1
	global_inv scope:SCOPE_SE
	s_and_saveexec_b32 s64, s33
	s_cbranch_execz .LBB0_19
; %bb.18:
	scratch_load_b64 v[72:73], off, off offset:216 th:TH_LOAD_LU ; 8-byte Folded Reload
	v_mul_hi_u32 v0, 0xf0f0f10, v69
	s_add_co_i32 s33, 0, 0x7e70
	s_lshl_b64 s[4:5], s[4:5], 4
	s_delay_alu instid0(VALU_DEP_1) | instskip(NEXT) | instid1(VALU_DEP_1)
	v_mul_u32_u24_e32 v0, 17, v0
	v_sub_nc_u32_e32 v74, v69, v0
	s_delay_alu instid0(VALU_DEP_1) | instskip(SKIP_1) | instid1(VALU_DEP_1)
	v_add_nc_u32_e32 v0, 0x110, v74
	s_wait_loadcnt 0x0
	v_mul_lo_u32 v9, v0, v72
	v_mul_lo_u32 v50, 0xffffffef, v72
	s_delay_alu instid0(VALU_DEP_2) | instskip(SKIP_1) | instid1(VALU_DEP_3)
	v_lshrrev_b32_e32 v0, 2, v9
	v_and_b32_e32 v1, 63, v9
	v_add_nc_u32_e32 v10, v9, v50
	s_delay_alu instid0(VALU_DEP_3) | instskip(NEXT) | instid1(VALU_DEP_3)
	v_and_b32_e32 v0, 0x3f0, v0
	v_lshl_add_u32 v5, v1, 4, 0
	s_delay_alu instid0(VALU_DEP_3)
	v_lshrrev_b32_e32 v11, 8, v10
	v_and_b32_e32 v12, 63, v10
	v_add_nc_u32_e32 v17, v10, v50
	s_wait_alu 0xfffe
	v_add_nc_u32_e32 v0, s33, v0
	ds_load_b128 v[1:4], v0 offset:1024
	ds_load_b128 v[5:8], v5 offset:32368
	v_lshrrev_b32_e32 v0, 8, v9
	v_lshrrev_b32_e32 v9, 2, v10
	v_and_b32_e32 v11, 0x3f0, v11
	v_lshl_add_u32 v12, v12, 4, 0
	v_and_b32_e32 v19, 63, v17
	v_and_b32_e32 v0, 0x3f0, v0
	;; [unrolled: 1-line block ×3, first 2 shown]
	v_add_nc_u32_e32 v11, s33, v11
	v_add_nc_u32_e32 v18, v17, v50
	v_lshl_add_u32 v19, v19, 4, 0
	v_add_nc_u32_e32 v0, s33, v0
	v_add_nc_u32_e32 v9, s33, v9
	ds_load_b128 v[13:16], v0 offset:2048
	ds_load_b128 v[25:28], v12 offset:32368
	;; [unrolled: 1-line block ×4, first 2 shown]
	v_lshrrev_b32_e32 v0, 2, v17
	v_lshrrev_b32_e32 v20, 2, v18
	v_and_b32_e32 v21, 63, v18
	s_wait_dscnt 0x4
	v_mul_f64_e32 v[51:52], v[7:8], v[3:4]
	v_mul_f64_e32 v[3:4], v[5:6], v[3:4]
	v_and_b32_e32 v0, 0x3f0, v0
	v_lshrrev_b32_e32 v22, 8, v18
	v_add_nc_u32_e32 v18, v18, v50
	v_and_b32_e32 v20, 0x3f0, v20
	v_lshrrev_b32_e32 v17, 8, v17
	v_add_nc_u32_e32 v0, s33, v0
	ds_load_b128 v[33:36], v19 offset:32368
	ds_load_b128 v[37:40], v0 offset:1024
	v_lshl_add_u32 v0, v21, 4, 0
	v_add_nc_u32_e32 v19, s33, v20
	ds_load_b128 v[41:44], v0 offset:32368
	ds_load_b128 v[45:48], v19 offset:1024
	s_wait_dscnt 0x5
	v_mul_f64_e32 v[53:54], v[27:28], v[31:32]
	v_mul_f64_e32 v[31:32], v[25:26], v[31:32]
	v_and_b32_e32 v0, 0x3f0, v17
	v_and_b32_e32 v17, 0x3f0, v22
	s_delay_alu instid0(VALU_DEP_2) | instskip(NEXT) | instid1(VALU_DEP_2)
	v_add_nc_u32_e32 v0, s33, v0
	v_add_nc_u32_e32 v17, s33, v17
	ds_load_b128 v[21:24], v0 offset:2048
	ds_load_b128 v[92:95], v17 offset:2048
	s_wait_dscnt 0x4
	v_mul_f64_e32 v[55:56], v[35:36], v[39:40]
	v_fma_f64 v[57:58], v[5:6], v[1:2], -v[51:52]
	v_fma_f64 v[59:60], v[7:8], v[1:2], v[3:4]
	v_lshrrev_b32_e32 v2, 2, v18
	v_and_b32_e32 v3, 63, v18
	v_mul_f64_e32 v[0:1], v[33:34], v[39:40]
	v_add_nc_u32_e32 v4, v18, v50
	s_wait_dscnt 0x2
	v_mul_f64_e32 v[39:40], v[43:44], v[47:48]
	v_and_b32_e32 v2, 0x3f0, v2
	v_lshl_add_u32 v3, v3, 4, 0
	v_mul_f64_e32 v[47:48], v[41:42], v[47:48]
	s_delay_alu instid0(VALU_DEP_3)
	v_add_nc_u32_e32 v2, s33, v2
	v_fma_f64 v[61:62], v[25:26], v[29:30], -v[53:54]
	v_fma_f64 v[63:64], v[27:28], v[29:30], v[31:32]
	ds_load_b128 v[25:28], v2 offset:1024
	ds_load_b128 v[29:32], v3 offset:32368
	v_lshrrev_b32_e32 v2, 8, v18
	v_lshrrev_b32_e32 v3, 8, v4
	s_delay_alu instid0(VALU_DEP_2) | instskip(NEXT) | instid1(VALU_DEP_2)
	v_and_b32_e32 v2, 0x3f0, v2
	v_and_b32_e32 v3, 0x3f0, v3
	s_delay_alu instid0(VALU_DEP_2) | instskip(SKIP_1) | instid1(VALU_DEP_3)
	v_add_nc_u32_e32 v2, s33, v2
	v_fma_f64 v[65:66], v[33:34], v[37:38], -v[55:56]
	v_add_nc_u32_e32 v3, s33, v3
	ds_load_b128 v[234:237], v2 offset:2048
	ds_load_b128 v[226:229], v3 offset:2048
	s_wait_dscnt 0x2
	v_mul_f64_e32 v[33:34], v[31:32], v[27:28]
	v_mul_f64_e32 v[27:28], v[29:30], v[27:28]
	v_fma_f64 v[67:68], v[35:36], v[37:38], v[0:1]
	v_lshrrev_b32_e32 v0, 2, v4
	v_and_b32_e32 v1, 63, v4
	v_fma_f64 v[70:71], v[41:42], v[45:46], -v[39:40]
	v_fma_f64 v[6:7], v[43:44], v[45:46], v[47:48]
	s_delay_alu instid0(VALU_DEP_4) | instskip(NEXT) | instid1(VALU_DEP_4)
	v_and_b32_e32 v0, 0x3f0, v0
	v_lshl_add_u32 v1, v1, 4, 0
	s_delay_alu instid0(VALU_DEP_2)
	v_add_nc_u32_e32 v0, s33, v0
	v_fma_f64 v[17:18], v[29:30], v[25:26], -v[33:34]
	v_fma_f64 v[76:77], v[31:32], v[25:26], v[27:28]
	ds_load_b128 v[25:28], v1 offset:32368
	ds_load_b128 v[29:32], v0 offset:1024
	v_add_nc_u32_e32 v0, v4, v50
	s_delay_alu instid0(VALU_DEP_1) | instskip(SKIP_3) | instid1(VALU_DEP_4)
	v_lshrrev_b32_e32 v1, 2, v0
	v_and_b32_e32 v2, 63, v0
	v_add_nc_u32_e32 v3, v0, v50
	v_lshrrev_b32_e32 v0, 8, v0
	v_and_b32_e32 v1, 0x3f0, v1
	s_delay_alu instid0(VALU_DEP_4) | instskip(NEXT) | instid1(VALU_DEP_3)
	v_lshl_add_u32 v2, v2, 4, 0
	v_and_b32_e32 v0, 0x3f0, v0
	s_delay_alu instid0(VALU_DEP_3) | instskip(NEXT) | instid1(VALU_DEP_2)
	v_add_nc_u32_e32 v1, s33, v1
	v_add_nc_u32_e32 v0, s33, v0
	s_wait_dscnt 0x0
	v_mul_f64_e32 v[33:34], v[27:28], v[31:32]
	v_mul_f64_e32 v[31:32], v[25:26], v[31:32]
	s_delay_alu instid0(VALU_DEP_2) | instskip(SKIP_4) | instid1(VALU_DEP_2)
	v_fma_f64 v[78:79], v[25:26], v[29:30], -v[33:34]
	ds_load_b128 v[33:36], v1 offset:1024
	ds_load_b128 v[37:40], v2 offset:32368
	v_lshrrev_b32_e32 v1, 8, v3
	v_fma_f64 v[116:117], v[27:28], v[29:30], v[31:32]
	v_and_b32_e32 v1, 0x3f0, v1
	s_delay_alu instid0(VALU_DEP_1)
	v_add_nc_u32_e32 v1, s33, v1
	ds_load_b128 v[244:247], v0 offset:2048
	ds_load_b128 v[240:243], v1 offset:2048
	v_lshrrev_b32_e32 v0, 2, v3
	v_and_b32_e32 v1, 63, v3
	s_wait_dscnt 0x2
	v_mul_f64_e32 v[41:42], v[39:40], v[35:36]
	v_mul_f64_e32 v[35:36], v[37:38], v[35:36]
	v_and_b32_e32 v0, 0x3f0, v0
	v_lshl_add_u32 v1, v1, 4, 0
	s_delay_alu instid0(VALU_DEP_2)
	v_add_nc_u32_e32 v0, s33, v0
	v_fma_f64 v[134:135], v[37:38], v[33:34], -v[41:42]
	v_fma_f64 v[84:85], v[39:40], v[33:34], v[35:36]
	ds_load_b128 v[33:36], v1 offset:32368
	ds_load_b128 v[37:40], v0 offset:1024
	v_add_nc_u32_e32 v0, v3, v50
	s_delay_alu instid0(VALU_DEP_1) | instskip(SKIP_3) | instid1(VALU_DEP_4)
	v_add_nc_u32_e32 v3, v0, v50
	v_lshrrev_b32_e32 v1, 2, v0
	v_lshrrev_b32_e32 v2, 8, v0
	v_and_b32_e32 v0, 63, v0
	v_lshrrev_b32_e32 v4, 8, v3
	s_delay_alu instid0(VALU_DEP_4) | instskip(NEXT) | instid1(VALU_DEP_4)
	v_and_b32_e32 v1, 0x3f0, v1
	v_and_b32_e32 v2, 0x3f0, v2
	s_delay_alu instid0(VALU_DEP_4) | instskip(NEXT) | instid1(VALU_DEP_4)
	v_lshl_add_u32 v0, v0, 4, 0
	v_and_b32_e32 v4, 0x3f0, v4
	s_delay_alu instid0(VALU_DEP_4) | instskip(NEXT) | instid1(VALU_DEP_4)
	v_add_nc_u32_e32 v1, s33, v1
	v_add_nc_u32_e32 v2, s33, v2
	s_wait_dscnt 0x0
	v_mul_f64_e32 v[41:42], v[35:36], v[39:40]
	v_add_nc_u32_e32 v4, s33, v4
	s_delay_alu instid0(VALU_DEP_2) | instskip(SKIP_1) | instid1(VALU_DEP_1)
	v_fma_f64 v[86:87], v[33:34], v[37:38], -v[41:42]
	v_mul_f64_e32 v[33:34], v[33:34], v[39:40]
	v_fma_f64 v[88:89], v[35:36], v[37:38], v[33:34]
	ds_load_b128 v[41:44], v1 offset:1024
	ds_load_b128 v[45:48], v0 offset:32368
	;; [unrolled: 1-line block ×4, first 2 shown]
	v_lshrrev_b32_e32 v2, 2, v3
	v_and_b32_e32 v4, 63, v3
	s_delay_alu instid0(VALU_DEP_2) | instskip(NEXT) | instid1(VALU_DEP_2)
	v_and_b32_e32 v2, 0x3f0, v2
	v_lshl_add_u32 v4, v4, 4, 0
	s_delay_alu instid0(VALU_DEP_2) | instskip(SKIP_3) | instid1(VALU_DEP_2)
	v_add_nc_u32_e32 v2, s33, v2
	s_wait_dscnt 0x2
	v_mul_f64_e32 v[51:52], v[47:48], v[43:44]
	v_mul_f64_e32 v[43:44], v[45:46], v[43:44]
	v_fma_f64 v[90:91], v[45:46], v[41:42], -v[51:52]
	s_delay_alu instid0(VALU_DEP_2) | instskip(SKIP_3) | instid1(VALU_DEP_1)
	v_fma_f64 v[0:1], v[47:48], v[41:42], v[43:44]
	ds_load_b128 v[41:44], v4 offset:32368
	ds_load_b128 v[45:48], v2 offset:1024
	v_add_nc_u32_e32 v2, v3, v50
	v_add_nc_u32_e32 v8, v2, v50
	v_lshrrev_b32_e32 v3, 2, v2
	v_lshrrev_b32_e32 v4, 8, v2
	v_and_b32_e32 v2, 63, v2
	s_delay_alu instid0(VALU_DEP_4) | instskip(NEXT) | instid1(VALU_DEP_4)
	v_lshrrev_b32_e32 v5, 8, v8
	v_and_b32_e32 v3, 0x3f0, v3
	s_delay_alu instid0(VALU_DEP_4) | instskip(NEXT) | instid1(VALU_DEP_4)
	v_and_b32_e32 v4, 0x3f0, v4
	v_lshl_add_u32 v2, v2, 4, 0
	s_delay_alu instid0(VALU_DEP_4) | instskip(NEXT) | instid1(VALU_DEP_4)
	v_and_b32_e32 v5, 0x3f0, v5
	v_add_nc_u32_e32 v3, s33, v3
	s_delay_alu instid0(VALU_DEP_4) | instskip(SKIP_3) | instid1(VALU_DEP_2)
	v_add_nc_u32_e32 v4, s33, v4
	s_wait_dscnt 0x0
	v_mul_f64_e32 v[51:52], v[43:44], v[47:48]
	v_add_nc_u32_e32 v5, s33, v5
	v_fma_f64 v[238:239], v[41:42], v[45:46], -v[51:52]
	v_mul_f64_e32 v[41:42], v[41:42], v[47:48]
	s_delay_alu instid0(VALU_DEP_1)
	v_fma_f64 v[204:205], v[43:44], v[45:46], v[41:42]
	ds_load_b128 v[51:54], v3 offset:1024
	ds_load_b128 v[100:103], v2 offset:32368
	;; [unrolled: 1-line block ×4, first 2 shown]
	v_lshrrev_b32_e32 v2, 2, v8
	v_and_b32_e32 v3, 63, v8
	s_delay_alu instid0(VALU_DEP_2) | instskip(NEXT) | instid1(VALU_DEP_2)
	v_and_b32_e32 v2, 0x3f0, v2
	v_lshl_add_u32 v3, v3, 4, 0
	s_delay_alu instid0(VALU_DEP_2) | instskip(SKIP_3) | instid1(VALU_DEP_2)
	v_add_nc_u32_e32 v2, s33, v2
	s_wait_dscnt 0x2
	v_mul_f64_e32 v[55:56], v[102:103], v[53:54]
	v_mul_f64_e32 v[53:54], v[100:101], v[53:54]
	v_fma_f64 v[19:20], v[100:101], v[51:52], -v[55:56]
	s_delay_alu instid0(VALU_DEP_2) | instskip(SKIP_3) | instid1(VALU_DEP_1)
	v_fma_f64 v[248:249], v[102:103], v[51:52], v[53:54]
	ds_load_b128 v[51:54], v3 offset:32368
	ds_load_b128 v[104:107], v2 offset:1024
	v_add_nc_u32_e32 v2, v8, v50
	v_lshrrev_b32_e32 v3, 2, v2
	s_wait_dscnt 0x0
	v_mul_f64_e32 v[55:56], v[53:54], v[106:107]
	s_delay_alu instid0(VALU_DEP_1) | instskip(SKIP_1) | instid1(VALU_DEP_1)
	v_fma_f64 v[4:5], v[51:52], v[104:105], -v[55:56]
	v_mul_f64_e32 v[51:52], v[51:52], v[106:107]
	v_fma_f64 v[25:26], v[53:54], v[104:105], v[51:52]
	v_add_nc_u32_e32 v51, v2, v50
	v_and_b32_e32 v52, 0x3f0, v3
	v_lshrrev_b32_e32 v3, 8, v2
	v_and_b32_e32 v54, 63, v2
	s_delay_alu instid0(VALU_DEP_4) | instskip(NEXT) | instid1(VALU_DEP_3)
	v_lshrrev_b32_e32 v2, 8, v51
	v_and_b32_e32 v53, 0x3f0, v3
	v_add_nc_u32_e32 v3, s33, v52
	s_delay_alu instid0(VALU_DEP_4) | instskip(NEXT) | instid1(VALU_DEP_4)
	v_lshl_add_u32 v8, v54, 4, 0
	v_and_b32_e32 v2, 0x3f0, v2
	s_delay_alu instid0(VALU_DEP_4) | instskip(NEXT) | instid1(VALU_DEP_2)
	v_add_nc_u32_e32 v35, s33, v53
	v_add_nc_u32_e32 v2, s33, v2
	ds_load_b128 v[106:109], v3 offset:1024
	ds_load_b128 v[110:113], v8 offset:32368
	;; [unrolled: 1-line block ×4, first 2 shown]
	v_add_nc_u32_e32 v2, v51, v50
	s_delay_alu instid0(VALU_DEP_1) | instskip(SKIP_3) | instid1(VALU_DEP_4)
	v_add_nc_u32_e32 v8, v2, v50
	v_lshrrev_b32_e32 v3, 2, v2
	v_lshrrev_b32_e32 v35, 8, v2
	v_and_b32_e32 v2, 63, v2
	v_lshrrev_b32_e32 v36, 8, v8
	s_delay_alu instid0(VALU_DEP_4) | instskip(NEXT) | instid1(VALU_DEP_4)
	v_and_b32_e32 v3, 0x3f0, v3
	v_and_b32_e32 v35, 0x3f0, v35
	s_delay_alu instid0(VALU_DEP_4) | instskip(NEXT) | instid1(VALU_DEP_4)
	v_lshl_add_u32 v2, v2, 4, 0
	v_and_b32_e32 v36, 0x3f0, v36
	s_delay_alu instid0(VALU_DEP_4)
	v_add_nc_u32_e32 v3, s33, v3
	s_wait_dscnt 0x2
	v_mul_f64_e32 v[114:115], v[112:113], v[108:109]
	v_mul_f64_e32 v[108:109], v[110:111], v[108:109]
	v_add_nc_u32_e32 v35, s33, v35
	v_add_nc_u32_e32 v36, s33, v36
	s_delay_alu instid0(VALU_DEP_4) | instskip(NEXT) | instid1(VALU_DEP_4)
	v_fma_f64 v[190:191], v[110:111], v[106:107], -v[114:115]
	v_fma_f64 v[206:207], v[112:113], v[106:107], v[108:109]
	ds_load_b128 v[106:109], v3 offset:1024
	ds_load_b128 v[110:113], v2 offset:32368
	;; [unrolled: 1-line block ×4, first 2 shown]
	v_lshrrev_b32_e32 v2, 2, v8
	v_and_b32_e32 v3, 63, v8
	s_delay_alu instid0(VALU_DEP_2) | instskip(NEXT) | instid1(VALU_DEP_2)
	v_and_b32_e32 v2, 0x3f0, v2
	v_lshl_add_u32 v3, v3, 4, 0
	s_delay_alu instid0(VALU_DEP_2) | instskip(SKIP_3) | instid1(VALU_DEP_2)
	v_add_nc_u32_e32 v2, s33, v2
	s_wait_dscnt 0x2
	v_mul_f64_e32 v[114:115], v[112:113], v[108:109]
	v_mul_f64_e32 v[108:109], v[110:111], v[108:109]
	v_fma_f64 v[208:209], v[110:111], v[106:107], -v[114:115]
	s_delay_alu instid0(VALU_DEP_2)
	v_fma_f64 v[210:211], v[112:113], v[106:107], v[108:109]
	ds_load_b128 v[106:109], v3 offset:32368
	ds_load_b128 v[110:113], v2 offset:1024
	v_mul_lo_u32 v2, v74, v72
	scratch_store_b32 off, v74, off offset:84 ; 4-byte Folded Spill
	v_lshrrev_b32_e32 v3, 2, v2
	v_lshrrev_b32_e32 v8, 8, v2
	v_and_b32_e32 v2, 63, v2
	s_delay_alu instid0(VALU_DEP_3) | instskip(NEXT) | instid1(VALU_DEP_3)
	v_and_b32_e32 v3, 0x3f0, v3
	v_and_b32_e32 v8, 0x3f0, v8
	s_delay_alu instid0(VALU_DEP_3) | instskip(NEXT) | instid1(VALU_DEP_3)
	v_lshl_add_u32 v2, v2, 4, 0
	v_add_nc_u32_e32 v3, s33, v3
	s_wait_dscnt 0x0
	v_mul_f64_e32 v[114:115], v[108:109], v[112:113]
	v_add_nc_u32_e32 v8, s33, v8
	s_delay_alu instid0(VALU_DEP_2) | instskip(SKIP_1) | instid1(VALU_DEP_1)
	v_fma_f64 v[212:213], v[106:107], v[110:111], -v[114:115]
	v_mul_f64_e32 v[106:107], v[106:107], v[112:113]
	v_fma_f64 v[214:215], v[108:109], v[110:111], v[106:107]
	ds_load_b128 v[106:109], v3 offset:1024
	ds_load_b128 v[110:113], v2 offset:32368
	;; [unrolled: 1-line block ×3, first 2 shown]
	v_lshrrev_b32_e32 v2, 2, v51
	v_and_b32_e32 v3, 63, v51
	s_delay_alu instid0(VALU_DEP_2) | instskip(NEXT) | instid1(VALU_DEP_2)
	v_and_b32_e32 v2, 0x3f0, v2
	v_lshl_add_u32 v3, v3, 4, 0
	s_delay_alu instid0(VALU_DEP_2) | instskip(SKIP_3) | instid1(VALU_DEP_2)
	v_add_nc_u32_e32 v2, s33, v2
	s_wait_dscnt 0x1
	v_mul_f64_e32 v[114:115], v[112:113], v[108:109]
	v_mul_f64_e32 v[108:109], v[110:111], v[108:109]
	v_fma_f64 v[216:217], v[110:111], v[106:107], -v[114:115]
	s_delay_alu instid0(VALU_DEP_2) | instskip(SKIP_4) | instid1(VALU_DEP_1)
	v_fma_f64 v[218:219], v[112:113], v[106:107], v[108:109]
	ds_load_b128 v[106:109], v3 offset:32368
	ds_load_b128 v[110:113], v2 offset:1024
	s_wait_dscnt 0x0
	v_mul_f64_e32 v[50:51], v[108:109], v[112:113]
	v_fma_f64 v[2:3], v[106:107], v[110:111], -v[50:51]
	v_mul_f64_e32 v[50:51], v[106:107], v[112:113]
	scratch_store_b64 off, v[2:3], off offset:108 ; 8-byte Folded Spill
	v_fma_f64 v[2:3], v[108:109], v[110:111], v[50:51]
	scratch_store_b64 off, v[2:3], off offset:116 ; 8-byte Folded Spill
	v_lshlrev_b32_e32 v3, 8, v74
	v_mul_u32_u24_e32 v2, 0x70, v69
	global_load_b128 v[106:109], v3, s[22:23]
	v_add3_u32 v2, 0, v2, v49
	ds_load_b128 v[110:113], v2 offset:1904
	ds_load_b128 v[49:52], v2
	global_load_b128 v[118:121], v3, s[22:23] offset:16
	s_wait_loadcnt_dscnt 0x101
	v_mul_f64_e32 v[114:115], v[112:113], v[108:109]
	v_mul_f64_e32 v[108:109], v[110:111], v[108:109]
	s_delay_alu instid0(VALU_DEP_2) | instskip(NEXT) | instid1(VALU_DEP_2)
	v_fma_f64 v[132:133], v[110:111], v[106:107], v[114:115]
	v_fma_f64 v[140:141], v[112:113], v[106:107], -v[108:109]
	s_clause 0x1
	global_load_b128 v[108:111], v3, s[22:23] offset:240
	global_load_b128 v[126:129], v3, s[22:23] offset:224
	ds_load_b128 v[122:125], v2 offset:30464
	s_wait_loadcnt_dscnt 0x100
	v_mul_f64_e32 v[106:107], v[124:125], v[110:111]
	v_mul_f64_e32 v[110:111], v[122:123], v[110:111]
	s_delay_alu instid0(VALU_DEP_2) | instskip(NEXT) | instid1(VALU_DEP_2)
	v_fma_f64 v[35:36], v[122:123], v[108:109], v[106:107]
	v_fma_f64 v[103:104], v[124:125], v[108:109], -v[110:111]
	ds_load_b128 v[110:113], v2 offset:3808
	ds_load_b128 v[136:139], v2 offset:5712
	s_wait_dscnt 0x1
	v_mul_f64_e32 v[122:123], v[112:113], v[120:121]
	s_delay_alu instid0(VALU_DEP_1) | instskip(SKIP_1) | instid1(VALU_DEP_1)
	v_fma_f64 v[230:231], v[110:111], v[118:119], v[122:123]
	v_mul_f64_e32 v[110:111], v[110:111], v[120:121]
	v_fma_f64 v[232:233], v[112:113], v[118:119], -v[110:111]
	ds_load_b128 v[118:121], v2 offset:28560
	ds_load_b128 v[142:145], v2 offset:26656
	s_wait_loadcnt_dscnt 0x1
	v_mul_f64_e32 v[110:111], v[120:121], v[128:129]
	v_mul_f64_e32 v[112:113], v[118:119], v[128:129]
	s_delay_alu instid0(VALU_DEP_2) | instskip(NEXT) | instid1(VALU_DEP_2)
	v_fma_f64 v[122:123], v[118:119], v[126:127], v[110:111]
	v_fma_f64 v[124:125], v[120:121], v[126:127], -v[112:113]
	s_clause 0x1
	global_load_b128 v[118:121], v3, s[22:23] offset:32
	global_load_b128 v[126:129], v3, s[22:23] offset:48
	s_wait_loadcnt 0x1
	v_mul_f64_e32 v[130:131], v[138:139], v[120:121]
	v_mul_f64_e32 v[120:121], v[136:137], v[120:121]
	s_delay_alu instid0(VALU_DEP_2) | instskip(NEXT) | instid1(VALU_DEP_2)
	v_fma_f64 v[250:251], v[136:137], v[118:119], v[130:131]
	v_fma_f64 v[252:253], v[138:139], v[118:119], -v[120:121]
	s_clause 0x1
	global_load_b128 v[136:139], v3, s[22:23] offset:208
	global_load_b128 v[146:149], v3, s[22:23] offset:192
	s_wait_loadcnt_dscnt 0x100
	v_mul_f64_e32 v[118:119], v[144:145], v[138:139]
	v_mul_f64_e32 v[120:121], v[142:143], v[138:139]
	s_delay_alu instid0(VALU_DEP_2) | instskip(NEXT) | instid1(VALU_DEP_2)
	v_fma_f64 v[130:131], v[142:143], v[136:137], v[118:119]
	v_fma_f64 v[119:120], v[144:145], v[136:137], -v[120:121]
	ds_load_b128 v[142:145], v2 offset:7616
	ds_load_b128 v[150:153], v2 offset:9520
	s_wait_dscnt 0x1
	v_mul_f64_e32 v[136:137], v[144:145], v[128:129]
	v_mul_f64_e32 v[128:129], v[142:143], v[128:129]
	s_delay_alu instid0(VALU_DEP_2) | instskip(NEXT) | instid1(VALU_DEP_2)
	v_fma_f64 v[137:138], v[142:143], v[126:127], v[136:137]
	v_fma_f64 v[254:255], v[144:145], v[126:127], -v[128:129]
	ds_load_b128 v[142:145], v2 offset:24752
	ds_load_b128 v[154:157], v2 offset:22848
	s_wait_loadcnt_dscnt 0x1
	v_mul_f64_e32 v[126:127], v[144:145], v[148:149]
	v_mul_f64_e32 v[128:129], v[142:143], v[148:149]
	s_delay_alu instid0(VALU_DEP_2) | instskip(NEXT) | instid1(VALU_DEP_2)
	v_fma_f64 v[126:127], v[142:143], v[146:147], v[126:127]
	v_fma_f64 v[128:129], v[144:145], v[146:147], -v[128:129]
	s_clause 0x1
	global_load_b128 v[142:145], v3, s[22:23] offset:64
	global_load_b128 v[158:161], v3, s[22:23] offset:80
	s_wait_loadcnt 0x1
	v_mul_f64_e32 v[146:147], v[152:153], v[144:145]
	v_mul_f64_e32 v[144:145], v[150:151], v[144:145]
	s_delay_alu instid0(VALU_DEP_2) | instskip(NEXT) | instid1(VALU_DEP_2)
	v_fma_f64 v[146:147], v[150:151], v[142:143], v[146:147]
	v_fma_f64 v[148:149], v[152:153], v[142:143], -v[144:145]
	s_clause 0x1
	global_load_b128 v[150:153], v3, s[22:23] offset:176
	global_load_b128 v[162:165], v3, s[22:23] offset:160
	s_wait_loadcnt_dscnt 0x100
	v_mul_f64_e32 v[142:143], v[156:157], v[152:153]
	v_mul_f64_e32 v[144:145], v[154:155], v[152:153]
	s_delay_alu instid0(VALU_DEP_2) | instskip(NEXT) | instid1(VALU_DEP_2)
	v_fma_f64 v[142:143], v[154:155], v[150:151], v[142:143]
	v_fma_f64 v[144:145], v[156:157], v[150:151], -v[144:145]
	ds_load_b128 v[150:153], v2 offset:11424
	ds_load_b128 v[166:169], v2 offset:13328
	s_wait_dscnt 0x1
	v_mul_f64_e32 v[154:155], v[152:153], v[160:161]
	s_delay_alu instid0(VALU_DEP_1) | instskip(SKIP_1) | instid1(VALU_DEP_1)
	v_fma_f64 v[156:157], v[150:151], v[158:159], v[154:155]
	v_mul_f64_e32 v[150:151], v[150:151], v[160:161]
	v_fma_f64 v[81:82], v[152:153], v[158:159], -v[150:151]
	ds_load_b128 v[158:161], v2 offset:20944
	ds_load_b128 v[170:173], v2 offset:19040
	s_wait_loadcnt_dscnt 0x1
	v_mul_f64_e32 v[150:151], v[160:161], v[164:165]
	v_mul_f64_e32 v[152:153], v[158:159], v[164:165]
	s_delay_alu instid0(VALU_DEP_2) | instskip(NEXT) | instid1(VALU_DEP_2)
	v_fma_f64 v[150:151], v[158:159], v[162:163], v[150:151]
	v_fma_f64 v[154:155], v[160:161], v[162:163], -v[152:153]
	s_clause 0x1
	global_load_b128 v[160:163], v3, s[22:23] offset:96
	global_load_b128 v[186:189], v3, s[22:23] offset:112
	s_wait_loadcnt 0x1
	v_mul_f64_e32 v[158:159], v[168:169], v[162:163]
	v_mul_f64_e32 v[162:163], v[166:167], v[162:163]
	s_delay_alu instid0(VALU_DEP_2)
	v_fma_f64 v[158:159], v[166:167], v[160:161], v[158:159]
	s_clause 0x1
	global_load_b128 v[164:167], v3, s[22:23] offset:144
	global_load_b128 v[196:199], v3, s[22:23] offset:128
	v_fma_f64 v[162:163], v[168:169], v[160:161], -v[162:163]
	s_wait_loadcnt_dscnt 0x100
	v_mul_f64_e32 v[160:161], v[172:173], v[166:167]
	v_mul_f64_e32 v[166:167], v[170:171], v[166:167]
	s_delay_alu instid0(VALU_DEP_2)
	v_fma_f64 v[160:161], v[170:171], v[164:165], v[160:161]
	ds_load_b128 v[168:171], v2 offset:15232
	ds_load_b128 v[200:203], v2 offset:17136
	v_fma_f64 v[164:165], v[172:173], v[164:165], -v[166:167]
	v_mul_f64_e32 v[2:3], v[6:7], v[94:95]
	s_wait_dscnt 0x1
	v_mul_f64_e32 v[166:167], v[170:171], v[188:189]
	s_wait_loadcnt_dscnt 0x0
	v_mul_f64_e32 v[172:173], v[200:201], v[198:199]
	s_delay_alu instid0(VALU_DEP_3) | instskip(NEXT) | instid1(VALU_DEP_3)
	v_fma_f64 v[73:74], v[92:93], v[70:71], -v[2:3]
	v_fma_f64 v[166:167], v[168:169], v[186:187], v[166:167]
	v_mul_f64_e32 v[168:169], v[168:169], v[188:189]
	s_delay_alu instid0(VALU_DEP_4) | instskip(NEXT) | instid1(VALU_DEP_2)
	v_fma_f64 v[172:173], v[202:203], v[196:197], -v[172:173]
	v_fma_f64 v[168:169], v[170:171], v[186:187], -v[168:169]
	v_mul_f64_e32 v[186:187], v[59:60], v[15:16]
	v_mul_f64_e32 v[15:16], v[57:58], v[15:16]
	;; [unrolled: 1-line block ×3, first 2 shown]
	s_delay_alu instid0(VALU_DEP_3) | instskip(NEXT) | instid1(VALU_DEP_3)
	v_fma_f64 v[220:221], v[13:14], v[57:58], -v[186:187]
	v_fma_f64 v[107:108], v[13:14], v[59:60], v[15:16]
	v_mul_f64_e32 v[15:16], v[63:64], v[11:12]
	v_mul_f64_e32 v[11:12], v[61:62], v[11:12]
	v_add_f64_e32 v[59:60], v[140:141], v[103:104]
	v_fma_f64 v[170:171], v[200:201], v[196:197], v[170:171]
	s_delay_alu instid0(VALU_DEP_4) | instskip(NEXT) | instid1(VALU_DEP_4)
	v_fma_f64 v[222:223], v[9:10], v[61:62], -v[15:16]
	v_fma_f64 v[224:225], v[9:10], v[63:64], v[11:12]
	v_mul_f64_e32 v[9:10], v[67:68], v[23:24]
	v_mul_f64_e32 v[15:16], v[88:89], v[242:243]
	v_add_f64_e32 v[61:62], v[232:233], v[124:125]
	v_add_f64_e64 v[12:13], v[156:157], -v[150:151]
	s_delay_alu instid0(VALU_DEP_4) | instskip(SKIP_4) | instid1(VALU_DEP_4)
	v_fma_f64 v[57:58], v[21:22], v[65:66], -v[9:10]
	v_mul_f64_e32 v[9:10], v[65:66], v[23:24]
	v_fma_f64 v[111:112], v[240:241], v[86:87], -v[15:16]
	v_add_f64_e32 v[65:66], v[230:231], v[122:123]
	v_add_f64_e64 v[14:15], v[148:149], -v[144:145]
	v_fma_f64 v[38:39], v[21:22], v[67:68], v[9:10]
	v_mul_f64_e32 v[9:10], v[70:71], v[94:95]
	v_mul_f64_e32 v[22:23], v[238:239], v[29:30]
	v_add_f64_e32 v[67:68], v[252:253], v[119:120]
	v_add_f64_e32 v[69:70], v[250:251], v[130:131]
	;; [unrolled: 1-line block ×3, first 2 shown]
	v_fma_f64 v[93:94], v[92:93], v[6:7], v[9:10]
	v_mul_f64_e32 v[9:10], v[76:77], v[236:237]
	v_mul_f64_e32 v[7:8], v[17:18], v[236:237]
	s_delay_alu instid0(VALU_DEP_2) | instskip(NEXT) | instid1(VALU_DEP_2)
	v_fma_f64 v[97:98], v[234:235], v[17:18], -v[9:10]
	v_fma_f64 v[95:96], v[234:235], v[76:77], v[7:8]
	v_mul_f64_e32 v[8:9], v[78:79], v[228:229]
	v_mul_f64_e32 v[17:18], v[90:91], v[33:34]
	;; [unrolled: 1-line block ×3, first 2 shown]
	v_add_f64_e32 v[75:76], v[137:138], v[126:127]
	v_mul_f64_e32 v[10:11], v[86:87], v[242:243]
	v_fma_f64 v[99:100], v[226:227], v[116:117], v[8:9]
	v_mul_f64_e32 v[8:9], v[84:85], v[246:247]
	v_fma_f64 v[117:118], v[31:32], v[0:1], v[17:18]
	v_mul_f64_e32 v[17:18], v[0:1], v[33:34]
	v_fma_f64 v[101:102], v[226:227], v[78:79], -v[6:7]
	v_add_f64_e32 v[77:78], v[148:149], v[144:145]
	v_add_f64_e32 v[79:80], v[146:147], v[142:143]
	v_fma_f64 v[113:114], v[240:241], v[88:89], v[10:11]
	v_add_f64_e32 v[87:88], v[158:159], v[160:161]
	v_fma_f64 v[109:110], v[244:245], v[134:135], -v[8:9]
	v_mul_f64_e32 v[8:9], v[134:135], v[246:247]
	v_fma_f64 v[135:136], v[27:28], v[204:205], v[22:23]
	v_mul_f64_e32 v[22:23], v[204:205], v[29:30]
	v_fma_f64 v[115:116], v[31:32], v[90:91], -v[17:18]
	v_add_f64_e64 v[31:32], v[250:251], -v[130:131]
	v_add_f64_e64 v[29:30], v[252:253], -v[119:120]
	v_add_f64_e32 v[89:90], v[166:167], v[170:171]
	v_add_f64_e32 v[91:92], v[168:169], v[172:173]
	v_fma_f64 v[105:106], v[244:245], v[84:85], v[8:9]
	v_add_f64_e32 v[83:84], v[156:157], v[150:151]
	v_fma_f64 v[152:153], v[27:28], v[238:239], -v[22:23]
	v_mul_f64_e32 v[22:23], v[19:20], v[47:48]
	v_mul_f64_e32 v[8:9], s[44:45], v[31:32]
	v_add_f64_e32 v[85:86], v[162:163], v[164:165]
	s_delay_alu instid0(VALU_DEP_3)
	v_fma_f64 v[0:1], v[45:46], v[248:249], v[22:23]
	v_mul_f64_e32 v[22:23], v[248:249], v[47:48]
	scratch_store_b64 off, v[0:1], off offset:728 ; 8-byte Folded Spill
	v_fma_f64 v[0:1], v[45:46], v[19:20], -v[22:23]
	v_mul_f64_e32 v[22:23], v[4:5], v[43:44]
	v_add_f64_e64 v[18:19], v[254:255], -v[128:129]
	scratch_store_b64 off, v[0:1], off offset:720 ; 8-byte Folded Spill
	v_fma_f64 v[0:1], v[41:42], v[25:26], v[22:23]
	v_mul_f64_e32 v[22:23], v[25:26], v[43:44]
	v_add_f64_e64 v[43:44], v[232:233], -v[124:125]
	scratch_store_b64 off, v[0:1], off offset:712 ; 8-byte Folded Spill
	v_fma_f64 v[0:1], v[41:42], v[4:5], -v[22:23]
	v_mul_f64_e32 v[22:23], v[190:191], v[176:177]
	v_add_f64_e64 v[41:42], v[140:141], -v[103:104]
	v_mul_f64_e32 v[248:249], s[40:41], v[43:44]
	scratch_store_b64 off, v[0:1], off offset:704 ; 8-byte Folded Spill
	v_fma_f64 v[0:1], v[174:175], v[206:207], v[22:23]
	v_mul_f64_e32 v[22:23], v[206:207], v[176:177]
	v_mul_f64_e32 v[246:247], s[42:43], v[41:42]
	scratch_store_b64 off, v[0:1], off offset:456 ; 8-byte Folded Spill
	v_fma_f64 v[0:1], v[174:175], v[190:191], -v[22:23]
	v_mul_f64_e32 v[22:23], v[208:209], v[180:181]
	scratch_store_b64 off, v[0:1], off offset:448 ; 8-byte Folded Spill
	v_fma_f64 v[0:1], v[178:179], v[210:211], v[22:23]
	v_mul_f64_e32 v[22:23], v[210:211], v[180:181]
	scratch_store_b64 off, v[0:1], off offset:280 ; 8-byte Folded Spill
	v_fma_f64 v[0:1], v[178:179], v[208:209], -v[22:23]
	v_mul_f64_e32 v[22:23], v[216:217], v[194:195]
	scratch_store_b64 off, v[0:1], off offset:264 ; 8-byte Folded Spill
	v_fma_f64 v[0:1], v[192:193], v[218:219], v[22:23]
	;; [unrolled: 6-line block ×3, first 2 shown]
	v_mul_f64_e32 v[22:23], v[214:215], v[184:185]
	scratch_store_b64 off, v[0:1], off offset:132 ; 8-byte Folded Spill
	v_fma_f64 v[0:1], v[182:183], v[212:213], -v[22:23]
	scratch_store_b64 off, v[0:1], off offset:124 ; 8-byte Folded Spill
	v_dual_mov_b32 v0, v35 :: v_dual_mov_b32 v1, v36
	v_add_f64_e64 v[34:35], v[230:231], -v[122:123]
	s_clause 0x1
	scratch_store_b64 off, v[0:1], off offset:216
	scratch_store_b64 off, v[132:133], off offset:368
	v_add_f64_e64 v[36:37], v[132:133], -v[0:1]
	v_add_f64_e32 v[63:64], v[132:133], v[0:1]
	v_mul_f64_e32 v[0:1], s[38:39], v[41:42]
	s_clause 0x1
	scratch_store_b64 off, v[103:104], off offset:196
	scratch_store_b64 off, v[140:141], off offset:344
	v_mul_f64_e32 v[133:134], s[36:37], v[18:19]
	v_mul_f64_e32 v[103:104], s[36:37], v[43:44]
	;; [unrolled: 1-line block ×4, first 2 shown]
	s_delay_alu instid0(VALU_DEP_3) | instskip(NEXT) | instid1(VALU_DEP_3)
	v_fma_f64 v[182:183], v[65:66], s[18:19], -v[103:104]
	v_fma_f64 v[24:25], v[61:62], s[12:13], v[16:17]
	s_delay_alu instid0(VALU_DEP_3)
	v_fma_f64 v[22:23], v[59:60], s[10:11], v[4:5]
	s_clause 0x6
	scratch_store_b64 off, v[4:5], off offset:156
	scratch_store_b64 off, v[122:123], off offset:240
	scratch_store_b64 off, v[230:231], off offset:392
	scratch_store_b64 off, v[124:125], off offset:224
	scratch_store_b64 off, v[232:233], off offset:376
	scratch_store_b64 off, v[16:17], off offset:164
	scratch_store_b64 off, v[0:1], off offset:172
	v_add_f64_e64 v[16:17], v[146:147], -v[142:143]
	v_add_f64_e64 v[4:5], v[168:169], -v[172:173]
	v_add_f64_e32 v[22:23], v[51:52], v[22:23]
	s_delay_alu instid0(VALU_DEP_2) | instskip(NEXT) | instid1(VALU_DEP_2)
	v_mul_f64_e32 v[2:3], s[36:37], v[4:5]
	v_add_f64_e32 v[22:23], v[24:25], v[22:23]
	v_fma_f64 v[24:25], v[63:64], s[10:11], -v[0:1]
	v_mul_f64_e32 v[0:1], s[42:43], v[43:44]
	s_delay_alu instid0(VALU_DEP_2) | instskip(NEXT) | instid1(VALU_DEP_2)
	v_add_f64_e32 v[24:25], v[49:50], v[24:25]
	v_fma_f64 v[26:27], v[65:66], s[12:13], -v[0:1]
	scratch_store_b64 off, v[0:1], off offset:180 ; 8-byte Folded Spill
	v_mul_f64_e32 v[0:1], s[44:45], v[29:30]
	s_clause 0x4
	scratch_store_b64 off, v[130:131], off offset:312
	scratch_store_b64 off, v[250:251], off offset:408
	;; [unrolled: 1-line block ×5, first 2 shown]
	v_mul_f64_e32 v[250:251], s[30:31], v[31:32]
	v_mul_f64_e32 v[252:253], s[30:31], v[29:30]
	v_mul_f64_e32 v[131:132], s[56:57], v[16:17]
	v_mul_f64_e32 v[119:120], s[48:49], v[4:5]
	v_add_f64_e32 v[24:25], v[26:27], v[24:25]
	v_fma_f64 v[26:27], v[67:68], s[26:27], v[8:9]
	s_clause 0x4
	scratch_store_b64 off, v[0:1], off offset:204
	scratch_store_b64 off, v[126:127], off offset:384
	;; [unrolled: 1-line block ×5, first 2 shown]
	v_mul_f64_e32 v[129:130], s[56:57], v[14:15]
	v_fma_f64 v[176:177], v[89:90], s[10:11], -v[119:120]
	v_add_f64_e32 v[21:22], v[26:27], v[22:23]
	v_fma_f64 v[26:27], v[69:70], s[26:27], -v[0:1]
	v_mul_f64_e32 v[0:1], s[40:41], v[18:19]
	s_delay_alu instid0(VALU_DEP_2)
	v_add_f64_e32 v[23:24], v[26:27], v[24:25]
	v_add_f64_e64 v[27:28], v[137:138], -v[126:127]
	scratch_store_b64 off, v[0:1], off offset:248 ; 8-byte Folded Spill
	v_mul_f64_e32 v[127:128], s[52:53], v[12:13]
	v_mul_f64_e32 v[8:9], s[40:41], v[27:28]
	;; [unrolled: 1-line block ×3, first 2 shown]
	s_delay_alu instid0(VALU_DEP_2)
	v_fma_f64 v[25:26], v[71:72], s[8:9], v[8:9]
	scratch_store_b64 off, v[8:9], off offset:232 ; 8-byte Folded Spill
	v_mul_f64_e32 v[8:9], s[28:29], v[16:17]
	s_clause 0x3
	scratch_store_b64 off, v[142:143], off offset:424
	scratch_store_b64 off, v[146:147], off offset:488
	;; [unrolled: 1-line block ×4, first 2 shown]
	v_add_f64_e32 v[21:22], v[25:26], v[21:22]
	v_fma_f64 v[25:26], v[75:76], s[8:9], -v[0:1]
	v_mul_f64_e32 v[0:1], s[28:29], v[14:15]
	scratch_store_b64 off, v[8:9], off offset:256 ; 8-byte Folded Spill
	v_add_f64_e32 v[23:24], v[25:26], v[23:24]
	scratch_store_b64 off, v[0:1], off offset:272 ; 8-byte Folded Spill
	v_fma_f64 v[25:26], v[77:78], s[16:17], v[8:9]
	v_mul_f64_e32 v[8:9], s[30:31], v[12:13]
	s_clause 0x1
	scratch_store_b64 off, v[150:151], off offset:480
	scratch_store_b64 off, v[156:157], off offset:520
	v_add_f64_e32 v[21:22], v[25:26], v[21:22]
	v_fma_f64 v[25:26], v[79:80], s[16:17], -v[0:1]
	v_dual_mov_b32 v0, v81 :: v_dual_mov_b32 v1, v82
	s_delay_alu instid0(VALU_DEP_1)
	v_add_f64_e32 v[81:82], v[0:1], v[154:155]
	v_add_f64_e64 v[10:11], v[0:1], -v[154:155]
	scratch_store_b64 off, v[0:1], off offset:512 ; 8-byte Folded Spill
	v_add_f64_e32 v[23:24], v[25:26], v[23:24]
	v_fma_f64 v[25:26], v[81:82], s[24:25], v[8:9]
	v_mul_f64_e32 v[0:1], s[30:31], v[10:11]
	scratch_store_b64 off, v[8:9], off offset:288 ; 8-byte Folded Spill
	v_add_f64_e64 v[8:9], v[158:159], -v[160:161]
	scratch_store_b64 off, v[154:155], off offset:464 ; 8-byte Folded Spill
	v_mul_f64_e32 v[125:126], s[52:53], v[10:11]
	v_add_f64_e32 v[21:22], v[25:26], v[21:22]
	scratch_store_b64 off, v[0:1], off offset:304 ; 8-byte Folded Spill
	v_fma_f64 v[25:26], v[83:84], s[24:25], -v[0:1]
	v_mul_f64_e32 v[6:7], s[34:35], v[8:9]
	s_clause 0x3
	scratch_store_b64 off, v[158:159], off offset:616
	scratch_store_b64 off, v[160:161], off offset:560
	;; [unrolled: 1-line block ×4, first 2 shown]
	v_mul_f64_e32 v[123:124], s[46:47], v[8:9]
	v_add_f64_e32 v[23:24], v[25:26], v[23:24]
	scratch_store_b64 off, v[6:7], off offset:320 ; 8-byte Folded Spill
	v_fma_f64 v[25:26], v[85:86], s[6:7], v[6:7]
	v_add_f64_e64 v[6:7], v[162:163], -v[164:165]
	s_delay_alu instid0(VALU_DEP_2) | instskip(NEXT) | instid1(VALU_DEP_2)
	v_add_f64_e32 v[21:22], v[25:26], v[21:22]
	v_mul_f64_e32 v[0:1], s[34:35], v[6:7]
	v_mul_f64_e32 v[121:122], s[46:47], v[6:7]
	s_delay_alu instid0(VALU_DEP_2)
	v_fma_f64 v[25:26], v[87:88], s[6:7], -v[0:1]
	s_clause 0x5
	scratch_store_b64 off, v[0:1], off offset:328
	scratch_store_b64 off, v[168:169], off offset:688
	;; [unrolled: 1-line block ×6, first 2 shown]
	v_add_f64_e32 v[23:24], v[25:26], v[23:24]
	v_fma_f64 v[25:26], v[89:90], s[18:19], -v[2:3]
	v_add_f64_e64 v[2:3], v[166:167], -v[170:171]
	s_delay_alu instid0(VALU_DEP_2) | instskip(NEXT) | instid1(VALU_DEP_2)
	v_add_f64_e32 v[23:24], v[25:26], v[23:24]
	v_mul_f64_e32 v[0:1], s[36:37], v[2:3]
	s_delay_alu instid0(VALU_DEP_1) | instskip(NEXT) | instid1(VALU_DEP_1)
	v_fma_f64 v[25:26], v[91:92], s[18:19], v[0:1]
	v_add_f64_e32 v[20:21], v[25:26], v[21:22]
	s_delay_alu instid0(VALU_DEP_4) | instskip(NEXT) | instid1(VALU_DEP_2)
	v_mul_f64_e32 v[25:26], v[23:24], v[107:108]
	v_mul_f64_e32 v[107:108], v[20:21], v[107:108]
	s_delay_alu instid0(VALU_DEP_2) | instskip(NEXT) | instid1(VALU_DEP_2)
	v_fma_f64 v[25:26], v[20:21], v[220:221], -v[25:26]
	v_fma_f64 v[23:24], v[23:24], v[220:221], v[107:108]
	scratch_store_b64 off, v[0:1], off offset:360 ; 8-byte Folded Spill
	v_mul_f64_e32 v[0:1], s[42:43], v[36:37]
	v_mul_f64_e32 v[107:108], s[48:49], v[2:3]
	scratch_store_b128 off, v[23:26], off offset:4 ; 16-byte Folded Spill
	v_fma_f64 v[24:25], v[65:66], s[8:9], -v[248:249]
	scratch_store_b64 off, v[0:1], off offset:736 ; 8-byte Folded Spill
	v_fma_f64 v[20:21], v[59:60], s[12:13], v[0:1]
	v_mul_f64_e32 v[0:1], s[40:41], v[34:35]
	v_fma_f64 v[206:207], v[91:92], s[10:11], v[107:108]
	s_delay_alu instid0(VALU_DEP_3) | instskip(NEXT) | instid1(VALU_DEP_3)
	v_add_f64_e32 v[20:21], v[51:52], v[20:21]
	v_fma_f64 v[22:23], v[61:62], s[8:9], v[0:1]
	scratch_store_b64 off, v[0:1], off offset:744 ; 8-byte Folded Spill
	v_mul_f64_e32 v[0:1], s[44:45], v[36:37]
	v_add_f64_e32 v[20:21], v[22:23], v[20:21]
	v_fma_f64 v[22:23], v[63:64], s[12:13], -v[246:247]
	scratch_store_b64 off, v[0:1], off offset:504 ; 8-byte Folded Spill
	v_add_f64_e32 v[22:23], v[49:50], v[22:23]
	s_delay_alu instid0(VALU_DEP_1) | instskip(SKIP_1) | instid1(VALU_DEP_1)
	v_add_f64_e32 v[22:23], v[24:25], v[22:23]
	v_fma_f64 v[24:25], v[67:68], s[24:25], v[250:251]
	v_add_f64_e32 v[20:21], v[24:25], v[20:21]
	v_fma_f64 v[24:25], v[69:70], s[24:25], -v[252:253]
	s_delay_alu instid0(VALU_DEP_1) | instskip(SKIP_1) | instid1(VALU_DEP_1)
	v_add_f64_e32 v[22:23], v[24:25], v[22:23]
	v_fma_f64 v[24:25], v[71:72], s[18:19], v[254:255]
	v_add_f64_e32 v[20:21], v[24:25], v[20:21]
	v_fma_f64 v[24:25], v[75:76], s[18:19], -v[133:134]
	;; [unrolled: 5-line block ×5, first 2 shown]
	v_mul_f64_e32 v[24:25], s[40:41], v[36:37]
	s_delay_alu instid0(VALU_DEP_3) | instskip(NEXT) | instid1(VALU_DEP_3)
	v_add_f64_e32 v[174:175], v[206:207], v[174:175]
	v_add_f64_e32 v[20:21], v[20:21], v[22:23]
	s_delay_alu instid0(VALU_DEP_2) | instskip(NEXT) | instid1(VALU_DEP_2)
	v_mul_f64_e32 v[208:209], v[174:175], v[224:225]
	v_add_f64_e32 v[176:177], v[176:177], v[20:21]
	s_delay_alu instid0(VALU_DEP_1) | instskip(NEXT) | instid1(VALU_DEP_3)
	v_mul_f64_e32 v[206:207], v[176:177], v[224:225]
	v_fma_f64 v[20:21], v[176:177], v[222:223], v[208:209]
	s_delay_alu instid0(VALU_DEP_2)
	v_fma_f64 v[22:23], v[174:175], v[222:223], -v[206:207]
	v_fma_f64 v[174:175], v[59:60], s[26:27], v[0:1]
	v_mul_f64_e32 v[0:1], s[30:31], v[34:35]
	scratch_store_b128 off, v[20:23], off offset:20 ; 16-byte Folded Spill
	v_add_f64_e32 v[174:175], v[51:52], v[174:175]
	scratch_store_b64 off, v[0:1], off offset:496 ; 8-byte Folded Spill
	v_fma_f64 v[176:177], v[61:62], s[24:25], v[0:1]
	v_mul_f64_e32 v[0:1], s[44:45], v[41:42]
	v_mul_f64_e32 v[20:21], s[40:41], v[6:7]
	s_delay_alu instid0(VALU_DEP_3)
	v_add_f64_e32 v[174:175], v[176:177], v[174:175]
	scratch_store_b64 off, v[0:1], off offset:552 ; 8-byte Folded Spill
	v_fma_f64 v[176:177], v[63:64], s[26:27], -v[0:1]
	v_mul_f64_e32 v[0:1], s[30:31], v[43:44]
	scratch_store_b64 off, v[20:21], off offset:656 ; 8-byte Folded Spill
	v_add_f64_e32 v[176:177], v[49:50], v[176:177]
	scratch_store_b64 off, v[0:1], off offset:544 ; 8-byte Folded Spill
	v_fma_f64 v[210:211], v[65:66], s[24:25], -v[0:1]
	v_mul_f64_e32 v[0:1], s[60:61], v[31:32]
	s_delay_alu instid0(VALU_DEP_2) | instskip(SKIP_3) | instid1(VALU_DEP_2)
	v_add_f64_e32 v[176:177], v[210:211], v[176:177]
	scratch_store_b64 off, v[0:1], off offset:536 ; 8-byte Folded Spill
	v_fma_f64 v[216:217], v[67:68], s[18:19], v[0:1]
	v_mul_f64_e32 v[0:1], s[60:61], v[29:30]
	v_add_f64_e32 v[174:175], v[216:217], v[174:175]
	scratch_store_b64 off, v[0:1], off offset:576 ; 8-byte Folded Spill
	v_fma_f64 v[216:217], v[69:70], s[18:19], -v[0:1]
	v_mul_f64_e32 v[0:1], s[52:53], v[27:28]
	s_delay_alu instid0(VALU_DEP_2) | instskip(SKIP_3) | instid1(VALU_DEP_2)
	v_add_f64_e32 v[176:177], v[216:217], v[176:177]
	scratch_store_b64 off, v[0:1], off offset:568 ; 8-byte Folded Spill
	v_fma_f64 v[220:221], v[71:72], s[16:17], v[0:1]
	v_mul_f64_e32 v[0:1], s[52:53], v[18:19]
	;; [unrolled: 9-line block ×4, first 2 shown]
	v_add_f64_e32 v[174:175], v[176:177], v[174:175]
	scratch_store_b64 off, v[0:1], off offset:640 ; 8-byte Folded Spill
	v_fma_f64 v[234:235], v[83:84], s[10:11], -v[0:1]
	v_mul_f64_e32 v[0:1], s[40:41], v[8:9]
	s_delay_alu instid0(VALU_DEP_2) | instskip(NEXT) | instid1(VALU_DEP_2)
	v_add_f64_e32 v[236:237], v[234:235], v[228:229]
	v_fma_f64 v[234:235], v[85:86], s[8:9], v[0:1]
	scratch_store_b64 off, v[0:1], off offset:632 ; 8-byte Folded Spill
	v_add_f64_e32 v[0:1], v[234:235], v[174:175]
	v_fma_f64 v[174:175], v[87:88], s[8:9], -v[20:21]
	v_mul_f64_e32 v[20:21], s[34:35], v[4:5]
	s_delay_alu instid0(VALU_DEP_2) | instskip(SKIP_3) | instid1(VALU_DEP_2)
	v_add_f64_e32 v[236:237], v[174:175], v[236:237]
	scratch_store_b64 off, v[20:21], off offset:648 ; 8-byte Folded Spill
	v_fma_f64 v[178:179], v[89:90], s[6:7], -v[20:21]
	v_mul_f64_e32 v[20:21], s[34:35], v[2:3]
	v_add_f64_e32 v[178:179], v[178:179], v[236:237]
	s_delay_alu instid0(VALU_DEP_2) | instskip(SKIP_3) | instid1(VALU_DEP_2)
	v_fma_f64 v[180:181], v[91:92], s[6:7], v[20:21]
	scratch_store_b64 off, v[20:21], off offset:696 ; 8-byte Folded Spill
	v_add_f64_e32 v[0:1], v[180:181], v[0:1]
	v_mul_f64_e32 v[180:181], v[178:179], v[38:39]
	v_mul_f64_e32 v[38:39], v[0:1], v[38:39]
	s_delay_alu instid0(VALU_DEP_2) | instskip(SKIP_1) | instid1(VALU_DEP_3)
	v_fma_f64 v[22:23], v[0:1], v[57:58], -v[180:181]
	v_mul_f64_e32 v[0:1], s[46:47], v[43:44]
	v_fma_f64 v[20:21], v[178:179], v[57:58], v[38:39]
	v_fma_f64 v[38:39], v[59:60], s[8:9], v[24:25]
	v_mul_f64_e32 v[57:58], s[36:37], v[34:35]
	s_delay_alu instid0(VALU_DEP_4) | instskip(SKIP_4) | instid1(VALU_DEP_1)
	v_fma_f64 v[238:239], v[65:66], s[26:27], -v[0:1]
	v_fma_f64 v[0:1], v[65:66], s[26:27], v[0:1]
	scratch_store_b128 off, v[20:23], off offset:36 ; 16-byte Folded Spill
	v_add_f64_e32 v[38:39], v[51:52], v[38:39]
	v_fma_f64 v[178:179], v[61:62], s[18:19], v[57:58]
	v_add_f64_e32 v[38:39], v[178:179], v[38:39]
	v_mul_f64_e32 v[178:179], s[40:41], v[41:42]
	s_delay_alu instid0(VALU_DEP_1) | instskip(NEXT) | instid1(VALU_DEP_1)
	v_fma_f64 v[180:181], v[63:64], s[8:9], -v[178:179]
	v_add_f64_e32 v[180:181], v[49:50], v[180:181]
	s_delay_alu instid0(VALU_DEP_1) | instskip(SKIP_1) | instid1(VALU_DEP_1)
	v_add_f64_e32 v[180:181], v[182:183], v[180:181]
	v_mul_f64_e32 v[182:183], s[52:53], v[31:32]
	v_fma_f64 v[184:185], v[67:68], s[16:17], v[182:183]
	s_delay_alu instid0(VALU_DEP_1) | instskip(SKIP_1) | instid1(VALU_DEP_1)
	v_add_f64_e32 v[38:39], v[184:185], v[38:39]
	v_mul_f64_e32 v[184:185], s[52:53], v[29:30]
	v_fma_f64 v[186:187], v[69:70], s[16:17], -v[184:185]
	s_delay_alu instid0(VALU_DEP_1) | instskip(SKIP_1) | instid1(VALU_DEP_1)
	v_add_f64_e32 v[180:181], v[186:187], v[180:181]
	v_mul_f64_e32 v[186:187], s[48:49], v[27:28]
	v_fma_f64 v[188:189], v[71:72], s[10:11], v[186:187]
	s_delay_alu instid0(VALU_DEP_1) | instskip(SKIP_1) | instid1(VALU_DEP_1)
	v_add_f64_e32 v[38:39], v[188:189], v[38:39]
	v_mul_f64_e32 v[188:189], s[48:49], v[18:19]
	v_fma_f64 v[190:191], v[75:76], s[10:11], -v[188:189]
	;; [unrolled: 8-line block ×5, first 2 shown]
	s_delay_alu instid0(VALU_DEP_1) | instskip(SKIP_1) | instid1(VALU_DEP_1)
	v_add_f64_e32 v[180:181], v[202:203], v[180:181]
	v_mul_f64_e32 v[202:203], s[50:51], v[4:5]
	v_fma_f64 v[204:205], v[89:90], s[12:13], -v[202:203]
	s_delay_alu instid0(VALU_DEP_1) | instskip(SKIP_1) | instid1(VALU_DEP_1)
	v_add_f64_e32 v[180:181], v[204:205], v[180:181]
	v_mul_f64_e32 v[204:205], s[50:51], v[2:3]
	v_fma_f64 v[206:207], v[91:92], s[12:13], v[204:205]
	s_delay_alu instid0(VALU_DEP_1) | instskip(NEXT) | instid1(VALU_DEP_4)
	v_add_f64_e32 v[38:39], v[206:207], v[38:39]
	v_mul_f64_e32 v[206:207], v[180:181], v[93:94]
	s_delay_alu instid0(VALU_DEP_2) | instskip(NEXT) | instid1(VALU_DEP_2)
	v_mul_f64_e32 v[93:94], v[38:39], v[93:94]
	v_fma_f64 v[22:23], v[38:39], v[73:74], -v[206:207]
	v_mul_f64_e32 v[206:207], s[28:29], v[41:42]
	s_delay_alu instid0(VALU_DEP_3)
	v_fma_f64 v[20:21], v[180:181], v[73:74], v[93:94]
	v_mul_f64_e32 v[73:74], s[28:29], v[36:37]
	v_mul_f64_e32 v[180:181], s[56:57], v[34:35]
	scratch_store_b128 off, v[20:23], off offset:52 ; 16-byte Folded Spill
	v_fma_f64 v[38:39], v[59:60], s[16:17], v[73:74]
	v_fma_f64 v[93:94], v[61:62], s[6:7], v[180:181]
	v_mul_f64_e32 v[22:23], s[56:57], v[43:44]
	v_mul_f64_e32 v[20:21], s[52:53], v[43:44]
	s_delay_alu instid0(VALU_DEP_4) | instskip(NEXT) | instid1(VALU_DEP_3)
	v_add_f64_e32 v[38:39], v[51:52], v[38:39]
	v_fma_f64 v[208:209], v[65:66], s[6:7], -v[22:23]
	s_delay_alu instid0(VALU_DEP_3) | instskip(NEXT) | instid1(VALU_DEP_3)
	v_fma_f64 v[234:235], v[65:66], s[16:17], -v[20:21]
	v_add_f64_e32 v[38:39], v[93:94], v[38:39]
	v_fma_f64 v[93:94], v[63:64], s[16:17], -v[206:207]
	s_delay_alu instid0(VALU_DEP_1) | instskip(NEXT) | instid1(VALU_DEP_1)
	v_add_f64_e32 v[93:94], v[49:50], v[93:94]
	v_add_f64_e32 v[93:94], v[208:209], v[93:94]
	v_mul_f64_e32 v[208:209], s[50:51], v[31:32]
	s_delay_alu instid0(VALU_DEP_1) | instskip(NEXT) | instid1(VALU_DEP_1)
	v_fma_f64 v[210:211], v[67:68], s[12:13], v[208:209]
	v_add_f64_e32 v[38:39], v[210:211], v[38:39]
	v_mul_f64_e32 v[210:211], s[50:51], v[29:30]
	s_delay_alu instid0(VALU_DEP_1) | instskip(NEXT) | instid1(VALU_DEP_1)
	v_fma_f64 v[212:213], v[69:70], s[12:13], -v[210:211]
	v_add_f64_e32 v[93:94], v[212:213], v[93:94]
	v_mul_f64_e32 v[212:213], s[44:45], v[27:28]
	s_delay_alu instid0(VALU_DEP_1) | instskip(NEXT) | instid1(VALU_DEP_1)
	v_fma_f64 v[214:215], v[71:72], s[26:27], v[212:213]
	v_add_f64_e32 v[38:39], v[214:215], v[38:39]
	v_mul_f64_e32 v[214:215], s[44:45], v[18:19]
	s_delay_alu instid0(VALU_DEP_1) | instskip(NEXT) | instid1(VALU_DEP_1)
	v_fma_f64 v[216:217], v[75:76], s[26:27], -v[214:215]
	;; [unrolled: 8-line block ×5, first 2 shown]
	v_add_f64_e32 v[93:94], v[176:177], v[93:94]
	v_mul_f64_e32 v[176:177], s[30:31], v[4:5]
	s_delay_alu instid0(VALU_DEP_1) | instskip(NEXT) | instid1(VALU_DEP_1)
	v_fma_f64 v[228:229], v[89:90], s[24:25], -v[176:177]
	v_add_f64_e32 v[93:94], v[228:229], v[93:94]
	v_mul_f64_e32 v[228:229], s[30:31], v[2:3]
	s_delay_alu instid0(VALU_DEP_1) | instskip(NEXT) | instid1(VALU_DEP_1)
	v_fma_f64 v[174:175], v[91:92], s[24:25], v[228:229]
	v_add_f64_e32 v[38:39], v[174:175], v[38:39]
	s_delay_alu instid0(VALU_DEP_4) | instskip(NEXT) | instid1(VALU_DEP_2)
	v_mul_f64_e32 v[174:175], v[93:94], v[95:96]
	v_mul_f64_e32 v[95:96], v[38:39], v[95:96]
	s_delay_alu instid0(VALU_DEP_2) | instskip(SKIP_1) | instid1(VALU_DEP_3)
	v_fma_f64 v[47:48], v[38:39], v[97:98], -v[174:175]
	v_mul_f64_e32 v[174:175], s[30:31], v[36:37]
	v_fma_f64 v[45:46], v[93:94], v[97:98], v[95:96]
	v_mul_f64_e32 v[93:94], s[52:53], v[34:35]
	s_delay_alu instid0(VALU_DEP_3) | instskip(SKIP_3) | instid1(VALU_DEP_1)
	v_fma_f64 v[38:39], v[59:60], s[24:25], v[174:175]
	scratch_store_b128 off, v[45:48], off offset:68 ; 16-byte Folded Spill
	v_fma_f64 v[95:96], v[61:62], s[16:17], v[93:94]
	v_add_f64_e32 v[38:39], v[51:52], v[38:39]
	v_add_f64_e32 v[38:39], v[95:96], v[38:39]
	v_mul_f64_e32 v[95:96], s[30:31], v[41:42]
	s_delay_alu instid0(VALU_DEP_1) | instskip(NEXT) | instid1(VALU_DEP_1)
	v_fma_f64 v[97:98], v[63:64], s[24:25], -v[95:96]
	v_add_f64_e32 v[97:98], v[49:50], v[97:98]
	s_delay_alu instid0(VALU_DEP_1) | instskip(SKIP_1) | instid1(VALU_DEP_1)
	v_add_f64_e32 v[97:98], v[234:235], v[97:98]
	v_mul_f64_e32 v[234:235], s[38:39], v[31:32]
	v_fma_f64 v[236:237], v[67:68], s[10:11], v[234:235]
	s_delay_alu instid0(VALU_DEP_1) | instskip(SKIP_1) | instid1(VALU_DEP_1)
	v_add_f64_e32 v[38:39], v[236:237], v[38:39]
	v_mul_f64_e32 v[236:237], s[38:39], v[29:30]
	v_fma_f64 v[45:46], v[69:70], s[10:11], -v[236:237]
	s_delay_alu instid0(VALU_DEP_1) | instskip(SKIP_1) | instid1(VALU_DEP_1)
	v_add_f64_e32 v[45:46], v[45:46], v[97:98]
	v_mul_f64_e32 v[97:98], s[34:35], v[27:28]
	v_fma_f64 v[47:48], v[71:72], s[6:7], v[97:98]
	s_delay_alu instid0(VALU_DEP_1) | instskip(SKIP_1) | instid1(VALU_DEP_1)
	v_add_f64_e32 v[38:39], v[47:48], v[38:39]
	v_mul_f64_e32 v[47:48], s[34:35], v[18:19]
	v_fma_f64 v[232:233], v[75:76], s[6:7], -v[47:48]
	;; [unrolled: 8-line block ×5, first 2 shown]
	s_delay_alu instid0(VALU_DEP_1) | instskip(SKIP_1) | instid1(VALU_DEP_1)
	v_add_f64_e32 v[45:46], v[146:147], v[45:46]
	v_mul_f64_e32 v[146:147], s[46:47], v[4:5]
	v_fma_f64 v[148:149], v[89:90], s[26:27], -v[146:147]
	s_delay_alu instid0(VALU_DEP_1) | instskip(SKIP_1) | instid1(VALU_DEP_1)
	v_add_f64_e32 v[45:46], v[148:149], v[45:46]
	v_mul_f64_e32 v[148:149], s[46:47], v[2:3]
	v_fma_f64 v[150:151], v[91:92], s[26:27], v[148:149]
	s_delay_alu instid0(VALU_DEP_1) | instskip(NEXT) | instid1(VALU_DEP_4)
	v_add_f64_e32 v[38:39], v[150:151], v[38:39]
	v_mul_f64_e32 v[150:151], v[45:46], v[99:100]
	s_delay_alu instid0(VALU_DEP_2) | instskip(NEXT) | instid1(VALU_DEP_2)
	v_mul_f64_e32 v[99:100], v[38:39], v[99:100]
	v_fma_f64 v[156:157], v[38:39], v[101:102], -v[150:151]
	v_mul_f64_e32 v[38:39], s[34:35], v[36:37]
	v_mul_f64_e32 v[150:151], s[34:35], v[41:42]
	;; [unrolled: 1-line block ×5, first 2 shown]
	v_fma_f64 v[154:155], v[45:46], v[101:102], v[99:100]
	v_mul_f64_e32 v[99:100], s[46:47], v[34:35]
	v_fma_f64 v[45:46], v[59:60], s[6:7], v[38:39]
	v_mul_f64_e32 v[33:34], s[48:49], v[34:35]
	scratch_store_b128 off, v[154:157], off offset:92 ; 16-byte Folded Spill
	v_fma_f64 v[101:102], v[61:62], s[26:27], v[99:100]
	v_add_f64_e32 v[45:46], v[51:52], v[45:46]
	s_delay_alu instid0(VALU_DEP_1) | instskip(SKIP_1) | instid1(VALU_DEP_1)
	v_add_f64_e32 v[45:46], v[101:102], v[45:46]
	v_fma_f64 v[101:102], v[63:64], s[6:7], -v[150:151]
	v_add_f64_e32 v[101:102], v[49:50], v[101:102]
	s_delay_alu instid0(VALU_DEP_1) | instskip(SKIP_2) | instid1(VALU_DEP_2)
	v_add_f64_e32 v[101:102], v[238:239], v[101:102]
	v_mul_f64_e32 v[238:239], s[40:41], v[31:32]
	v_mul_f64_e32 v[31:32], s[34:35], v[31:32]
	v_fma_f64 v[240:241], v[67:68], s[8:9], v[238:239]
	s_delay_alu instid0(VALU_DEP_1) | instskip(SKIP_2) | instid1(VALU_DEP_2)
	v_add_f64_e32 v[45:46], v[240:241], v[45:46]
	v_mul_f64_e32 v[240:241], s[40:41], v[29:30]
	v_mul_f64_e32 v[29:30], s[34:35], v[29:30]
	v_fma_f64 v[154:155], v[69:70], s[8:9], -v[240:241]
	s_delay_alu instid0(VALU_DEP_1) | instskip(SKIP_2) | instid1(VALU_DEP_2)
	v_add_f64_e32 v[101:102], v[154:155], v[101:102]
	v_mul_f64_e32 v[154:155], s[58:59], v[27:28]
	v_mul_f64_e32 v[26:27], s[50:51], v[27:28]
	v_fma_f64 v[156:157], v[71:72], s[24:25], v[154:155]
	s_delay_alu instid0(VALU_DEP_1) | instskip(SKIP_1) | instid1(VALU_DEP_1)
	v_add_f64_e32 v[45:46], v[156:157], v[45:46]
	v_mul_f64_e32 v[156:157], s[58:59], v[18:19]
	v_fma_f64 v[158:159], v[75:76], s[24:25], -v[156:157]
	s_delay_alu instid0(VALU_DEP_1) | instskip(SKIP_1) | instid1(VALU_DEP_1)
	v_add_f64_e32 v[101:102], v[158:159], v[101:102]
	v_mul_f64_e32 v[158:159], s[38:39], v[16:17]
	v_fma_f64 v[160:161], v[77:78], s[10:11], v[158:159]
	s_delay_alu instid0(VALU_DEP_1) | instskip(SKIP_2) | instid1(VALU_DEP_2)
	v_add_f64_e32 v[45:46], v[160:161], v[45:46]
	v_mul_f64_e32 v[160:161], s[38:39], v[14:15]
	v_mul_f64_e32 v[14:15], s[30:31], v[14:15]
	v_fma_f64 v[162:163], v[79:80], s[10:11], -v[160:161]
	s_delay_alu instid0(VALU_DEP_1) | instskip(SKIP_2) | instid1(VALU_DEP_2)
	v_add_f64_e32 v[101:102], v[162:163], v[101:102]
	v_mul_f64_e32 v[162:163], s[36:37], v[12:13]
	v_mul_f64_e32 v[12:13], s[46:47], v[12:13]
	v_fma_f64 v[164:165], v[81:82], s[18:19], v[162:163]
	s_delay_alu instid0(VALU_DEP_1) | instskip(SKIP_2) | instid1(VALU_DEP_2)
	v_add_f64_e32 v[45:46], v[164:165], v[45:46]
	v_mul_f64_e32 v[164:165], s[36:37], v[10:11]
	v_mul_f64_e32 v[10:11], s[46:47], v[10:11]
	v_fma_f64 v[166:167], v[83:84], s[18:19], -v[164:165]
	s_delay_alu instid0(VALU_DEP_1) | instskip(SKIP_2) | instid1(VALU_DEP_2)
	v_add_f64_e32 v[101:102], v[166:167], v[101:102]
	v_mul_f64_e32 v[166:167], s[50:51], v[8:9]
	;; [unrolled: 10-line block ×3, first 2 shown]
	v_mul_f64_e32 v[4:5], s[54:55], v[4:5]
	v_fma_f64 v[172:173], v[89:90], s[16:17], -v[170:171]
	s_delay_alu instid0(VALU_DEP_1) | instskip(SKIP_2) | instid1(VALU_DEP_2)
	v_add_f64_e32 v[101:102], v[172:173], v[101:102]
	v_mul_f64_e32 v[172:173], s[28:29], v[2:3]
	v_mul_f64_e32 v[2:3], s[54:55], v[2:3]
	v_fma_f64 v[242:243], v[91:92], s[16:17], v[172:173]
	s_delay_alu instid0(VALU_DEP_1) | instskip(SKIP_1) | instid1(VALU_DEP_2)
	v_add_f64_e32 v[45:46], v[242:243], v[45:46]
	v_mul_f64_e32 v[242:243], v[101:102], v[105:106]
	v_mul_f64_e32 v[105:106], v[45:46], v[105:106]
	s_delay_alu instid0(VALU_DEP_2) | instskip(SKIP_2) | instid1(VALU_DEP_4)
	v_fma_f64 v[244:245], v[45:46], v[109:110], -v[242:243]
	v_fma_f64 v[45:46], v[59:60], s[18:19], v[36:37]
	v_fma_f64 v[35:36], v[59:60], s[18:19], -v[36:37]
	v_fma_f64 v[242:243], v[101:102], v[109:110], v[105:106]
	v_fma_f64 v[101:102], v[61:62], s[10:11], v[33:34]
	s_delay_alu instid0(VALU_DEP_4) | instskip(SKIP_3) | instid1(VALU_DEP_4)
	v_add_f64_e32 v[45:46], v[51:52], v[45:46]
	v_fma_f64 v[105:106], v[65:66], s[10:11], -v[42:43]
	v_add_f64_e32 v[35:36], v[51:52], v[35:36]
	v_fma_f64 v[33:34], v[61:62], s[10:11], -v[33:34]
	;; [unrolled: 2-line block ×3, first 2 shown]
	s_delay_alu instid0(VALU_DEP_3) | instskip(SKIP_2) | instid1(VALU_DEP_4)
	v_add_f64_e32 v[33:34], v[33:34], v[35:36]
	v_fma_f64 v[35:36], v[63:64], s[18:19], v[40:41]
	v_fma_f64 v[40:41], v[65:66], s[10:11], v[42:43]
	v_add_f64_e32 v[101:102], v[49:50], v[101:102]
	s_delay_alu instid0(VALU_DEP_3) | instskip(NEXT) | instid1(VALU_DEP_2)
	v_add_f64_e32 v[35:36], v[49:50], v[35:36]
	v_add_f64_e32 v[101:102], v[105:106], v[101:102]
	v_fma_f64 v[105:106], v[67:68], s[6:7], v[31:32]
	v_fma_f64 v[31:32], v[67:68], s[6:7], -v[31:32]
	s_delay_alu instid0(VALU_DEP_4) | instskip(NEXT) | instid1(VALU_DEP_3)
	v_add_f64_e32 v[35:36], v[40:41], v[35:36]
	v_add_f64_e32 v[44:45], v[105:106], v[45:46]
	v_fma_f64 v[105:106], v[69:70], s[6:7], -v[29:30]
	s_delay_alu instid0(VALU_DEP_4) | instskip(SKIP_1) | instid1(VALU_DEP_3)
	v_add_f64_e32 v[31:32], v[31:32], v[33:34]
	v_fma_f64 v[28:29], v[69:70], s[6:7], v[29:30]
	v_add_f64_e32 v[101:102], v[105:106], v[101:102]
	v_fma_f64 v[105:106], v[71:72], s[12:13], v[26:27]
	v_fma_f64 v[26:27], v[71:72], s[12:13], -v[26:27]
	s_delay_alu instid0(VALU_DEP_4) | instskip(NEXT) | instid1(VALU_DEP_3)
	v_add_f64_e32 v[28:29], v[28:29], v[35:36]
	v_add_f64_e32 v[44:45], v[105:106], v[44:45]
	v_mul_f64_e32 v[105:106], s[50:51], v[18:19]
	s_delay_alu instid0(VALU_DEP_4) | instskip(NEXT) | instid1(VALU_DEP_2)
	v_add_f64_e32 v[26:27], v[26:27], v[31:32]
	v_fma_f64 v[18:19], v[75:76], s[12:13], -v[105:106]
	v_fma_f64 v[30:31], v[75:76], s[12:13], v[105:106]
	s_delay_alu instid0(VALU_DEP_2) | instskip(SKIP_1) | instid1(VALU_DEP_3)
	v_add_f64_e32 v[18:19], v[18:19], v[101:102]
	v_mul_f64_e32 v[101:102], s[30:31], v[16:17]
	v_add_f64_e32 v[28:29], v[30:31], v[28:29]
	s_delay_alu instid0(VALU_DEP_2) | instskip(SKIP_1) | instid1(VALU_DEP_2)
	v_fma_f64 v[16:17], v[77:78], s[24:25], v[101:102]
	v_fma_f64 v[30:31], v[77:78], s[24:25], -v[101:102]
	v_add_f64_e32 v[16:17], v[16:17], v[44:45]
	v_fma_f64 v[44:45], v[79:80], s[24:25], -v[14:15]
	v_fma_f64 v[14:15], v[79:80], s[24:25], v[14:15]
	s_delay_alu instid0(VALU_DEP_4)
	v_add_f64_e32 v[26:27], v[30:31], v[26:27]
	scratch_load_b64 v[30:31], off, off offset:640 th:TH_LOAD_LU ; 8-byte Folded Reload
	v_add_f64_e32 v[18:19], v[44:45], v[18:19]
	v_fma_f64 v[44:45], v[81:82], s[26:27], v[12:13]
	v_add_f64_e32 v[14:15], v[14:15], v[28:29]
	v_fma_f64 v[12:13], v[81:82], s[26:27], -v[12:13]
	scratch_load_b64 v[28:29], off, off offset:624 th:TH_LOAD_LU ; 8-byte Folded Reload
	v_add_f64_e32 v[16:17], v[44:45], v[16:17]
	v_fma_f64 v[44:45], v[83:84], s[26:27], -v[10:11]
	v_fma_f64 v[10:11], v[83:84], s[26:27], v[10:11]
	v_add_f64_e32 v[12:13], v[12:13], v[26:27]
	scratch_load_b64 v[26:27], off, off offset:544 th:TH_LOAD_LU ; 8-byte Folded Reload
	v_add_f64_e32 v[18:19], v[44:45], v[18:19]
	v_fma_f64 v[44:45], v[85:86], s[16:17], v[8:9]
	v_add_f64_e32 v[10:11], v[10:11], v[14:15]
	v_fma_f64 v[8:9], v[85:86], s[16:17], -v[8:9]
	scratch_load_b64 v[14:15], off, off offset:140 th:TH_LOAD_LU ; 8-byte Folded Reload
	v_add_f64_e32 v[16:17], v[44:45], v[16:17]
	v_fma_f64 v[44:45], v[87:88], s[16:17], -v[6:7]
	v_fma_f64 v[6:7], v[87:88], s[16:17], v[6:7]
	v_add_f64_e32 v[8:9], v[8:9], v[12:13]
	s_delay_alu instid0(VALU_DEP_3) | instskip(SKIP_1) | instid1(VALU_DEP_4)
	v_add_f64_e32 v[18:19], v[44:45], v[18:19]
	v_fma_f64 v[44:45], v[89:90], s[8:9], -v[4:5]
	v_add_f64_e32 v[6:7], v[6:7], v[10:11]
	v_fma_f64 v[4:5], v[89:90], s[8:9], v[4:5]
	scratch_load_b64 v[10:11], off, off offset:148 th:TH_LOAD_LU ; 8-byte Folded Reload
	v_add_f64_e32 v[44:45], v[44:45], v[18:19]
	v_fma_f64 v[18:19], v[91:92], s[8:9], v[2:3]
	v_add_f64_e32 v[4:5], v[4:5], v[6:7]
	v_fma_f64 v[2:3], v[91:92], s[8:9], -v[2:3]
	s_delay_alu instid0(VALU_DEP_3) | instskip(NEXT) | instid1(VALU_DEP_3)
	v_add_f64_e32 v[16:17], v[18:19], v[16:17]
	v_mul_f64_e32 v[6:7], v[4:5], v[117:118]
	s_delay_alu instid0(VALU_DEP_3) | instskip(SKIP_1) | instid1(VALU_DEP_4)
	v_add_f64_e32 v[2:3], v[2:3], v[8:9]
	v_mul_f64_e32 v[18:19], v[44:45], v[113:114]
	v_mul_f64_e32 v[109:110], v[16:17], v[113:114]
	s_delay_alu instid0(VALU_DEP_3)
	v_mul_f64_e32 v[8:9], v[2:3], v[117:118]
	v_fma_f64 v[35:36], v[2:3], v[115:116], -v[6:7]
	v_fma_f64 v[2:3], v[59:60], s[6:7], -v[38:39]
	;; [unrolled: 1-line block ×3, first 2 shown]
	s_wait_loadcnt 0x4
	v_fma_f64 v[30:31], v[83:84], s[10:11], v[30:31]
	v_fma_f64 v[16:17], v[44:45], v[111:112], v[109:110]
	;; [unrolled: 1-line block ×3, first 2 shown]
	v_fma_f64 v[4:5], v[61:62], s[26:27], -v[99:100]
	v_add_f64_e32 v[2:3], v[51:52], v[2:3]
	scratch_load_b64 v[8:9], off, off offset:720 th:TH_LOAD_LU ; 8-byte Folded Reload
	s_wait_loadcnt 0x4
	v_fma_f64 v[28:29], v[81:82], s[10:11], -v[28:29]
	v_add_f64_e32 v[2:3], v[4:5], v[2:3]
	v_fma_f64 v[4:5], v[63:64], s[6:7], v[150:151]
	s_wait_loadcnt 0x3
	v_fma_f64 v[26:27], v[65:66], s[24:25], v[26:27]
	s_delay_alu instid0(VALU_DEP_2) | instskip(NEXT) | instid1(VALU_DEP_1)
	v_add_f64_e32 v[4:5], v[49:50], v[4:5]
	v_add_f64_e32 v[0:1], v[0:1], v[4:5]
	v_fma_f64 v[4:5], v[67:68], s[8:9], -v[238:239]
	s_delay_alu instid0(VALU_DEP_1) | instskip(SKIP_1) | instid1(VALU_DEP_1)
	v_add_f64_e32 v[2:3], v[4:5], v[2:3]
	v_fma_f64 v[4:5], v[69:70], s[8:9], v[240:241]
	v_add_f64_e32 v[0:1], v[4:5], v[0:1]
	v_fma_f64 v[4:5], v[71:72], s[24:25], -v[154:155]
	s_delay_alu instid0(VALU_DEP_1) | instskip(SKIP_1) | instid1(VALU_DEP_1)
	v_add_f64_e32 v[2:3], v[4:5], v[2:3]
	v_fma_f64 v[4:5], v[75:76], s[24:25], v[156:157]
	;; [unrolled: 5-line block ×5, first 2 shown]
	v_add_f64_e32 v[0:1], v[4:5], v[0:1]
	v_fma_f64 v[4:5], v[89:90], s[16:17], v[170:171]
	s_delay_alu instid0(VALU_DEP_1) | instskip(SKIP_1) | instid1(VALU_DEP_1)
	v_add_f64_e32 v[0:1], v[4:5], v[0:1]
	v_fma_f64 v[4:5], v[91:92], s[16:17], -v[172:173]
	v_add_f64_e32 v[2:3], v[4:5], v[2:3]
	s_delay_alu instid0(VALU_DEP_3) | instskip(NEXT) | instid1(VALU_DEP_2)
	v_mul_f64_e32 v[4:5], v[0:1], v[135:136]
	v_mul_f64_e32 v[6:7], v[2:3], v[135:136]
	s_delay_alu instid0(VALU_DEP_2) | instskip(SKIP_2) | instid1(VALU_DEP_4)
	v_fma_f64 v[39:40], v[2:3], v[152:153], -v[4:5]
	v_fma_f64 v[2:3], v[61:62], s[16:17], -v[93:94]
	v_fma_f64 v[4:5], v[65:66], s[16:17], v[20:21]
	v_fma_f64 v[37:38], v[0:1], v[152:153], v[6:7]
	v_fma_f64 v[0:1], v[59:60], s[24:25], -v[174:175]
	scratch_load_b64 v[6:7], off, off offset:728 th:TH_LOAD_LU ; 8-byte Folded Reload
	v_add_f64_e32 v[0:1], v[51:52], v[0:1]
	s_delay_alu instid0(VALU_DEP_1) | instskip(SKIP_1) | instid1(VALU_DEP_1)
	v_add_f64_e32 v[0:1], v[2:3], v[0:1]
	v_fma_f64 v[2:3], v[67:68], s[10:11], -v[234:235]
	v_add_f64_e32 v[0:1], v[2:3], v[0:1]
	v_fma_f64 v[2:3], v[71:72], s[6:7], -v[97:98]
	s_delay_alu instid0(VALU_DEP_1) | instskip(SKIP_1) | instid1(VALU_DEP_1)
	v_add_f64_e32 v[0:1], v[2:3], v[0:1]
	v_fma_f64 v[2:3], v[77:78], s[8:9], -v[232:233]
	v_add_f64_e32 v[0:1], v[2:3], v[0:1]
	v_fma_f64 v[2:3], v[81:82], s[12:13], -v[140:141]
	s_delay_alu instid0(VALU_DEP_1) | instskip(SKIP_1) | instid1(VALU_DEP_1)
	v_add_f64_e32 v[0:1], v[2:3], v[0:1]
	v_fma_f64 v[2:3], v[85:86], s[18:19], -v[142:143]
	v_add_f64_e32 v[0:1], v[2:3], v[0:1]
	v_fma_f64 v[2:3], v[63:64], s[24:25], v[95:96]
	s_delay_alu instid0(VALU_DEP_1) | instskip(NEXT) | instid1(VALU_DEP_1)
	v_add_f64_e32 v[2:3], v[49:50], v[2:3]
	v_add_f64_e32 v[2:3], v[4:5], v[2:3]
	v_fma_f64 v[4:5], v[69:70], s[10:11], v[236:237]
	s_delay_alu instid0(VALU_DEP_1) | instskip(SKIP_1) | instid1(VALU_DEP_1)
	v_add_f64_e32 v[2:3], v[4:5], v[2:3]
	v_fma_f64 v[4:5], v[75:76], s[6:7], v[47:48]
	v_add_f64_e32 v[2:3], v[4:5], v[2:3]
	v_fma_f64 v[4:5], v[79:80], s[8:9], v[230:231]
	s_delay_alu instid0(VALU_DEP_1) | instskip(SKIP_1) | instid1(VALU_DEP_1)
	v_add_f64_e32 v[2:3], v[4:5], v[2:3]
	v_fma_f64 v[4:5], v[83:84], s[12:13], v[137:138]
	;; [unrolled: 5-line block ×3, first 2 shown]
	v_add_f64_e32 v[2:3], v[4:5], v[2:3]
	v_fma_f64 v[4:5], v[91:92], s[26:27], -v[148:149]
	s_delay_alu instid0(VALU_DEP_1) | instskip(SKIP_1) | instid1(VALU_DEP_3)
	v_add_f64_e32 v[0:1], v[4:5], v[0:1]
	s_wait_loadcnt 0x0
	v_mul_f64_e32 v[4:5], v[2:3], v[6:7]
	s_delay_alu instid0(VALU_DEP_2) | instskip(NEXT) | instid1(VALU_DEP_2)
	v_mul_f64_e32 v[6:7], v[0:1], v[6:7]
	v_fma_f64 v[43:44], v[0:1], v[8:9], -v[4:5]
	v_fma_f64 v[0:1], v[59:60], s[16:17], -v[73:74]
	v_fma_f64 v[4:5], v[65:66], s[6:7], v[22:23]
	scratch_load_b64 v[22:23], off, off offset:132 th:TH_LOAD_LU ; 8-byte Folded Reload
	v_fma_f64 v[41:42], v[2:3], v[8:9], v[6:7]
	v_fma_f64 v[2:3], v[61:62], s[6:7], -v[180:181]
	v_add_f64_e32 v[0:1], v[51:52], v[0:1]
	s_clause 0x1
	scratch_load_b64 v[6:7], off, off offset:712 th:TH_LOAD_LU
	scratch_load_b64 v[8:9], off, off offset:704 th:TH_LOAD_LU
	v_add_f64_e32 v[0:1], v[2:3], v[0:1]
	v_fma_f64 v[2:3], v[67:68], s[12:13], -v[208:209]
	s_delay_alu instid0(VALU_DEP_1) | instskip(SKIP_1) | instid1(VALU_DEP_1)
	v_add_f64_e32 v[0:1], v[2:3], v[0:1]
	v_fma_f64 v[2:3], v[71:72], s[26:27], -v[212:213]
	v_add_f64_e32 v[0:1], v[2:3], v[0:1]
	v_fma_f64 v[2:3], v[77:78], s[18:19], -v[216:217]
	s_delay_alu instid0(VALU_DEP_1) | instskip(SKIP_1) | instid1(VALU_DEP_1)
	v_add_f64_e32 v[0:1], v[2:3], v[0:1]
	v_fma_f64 v[2:3], v[81:82], s[8:9], -v[220:221]
	v_add_f64_e32 v[0:1], v[2:3], v[0:1]
	v_fma_f64 v[2:3], v[85:86], s[10:11], -v[224:225]
	s_delay_alu instid0(VALU_DEP_1) | instskip(SKIP_1) | instid1(VALU_DEP_1)
	v_add_f64_e32 v[0:1], v[2:3], v[0:1]
	v_fma_f64 v[2:3], v[63:64], s[16:17], v[206:207]
	v_add_f64_e32 v[2:3], v[49:50], v[2:3]
	s_delay_alu instid0(VALU_DEP_1) | instskip(SKIP_1) | instid1(VALU_DEP_1)
	v_add_f64_e32 v[2:3], v[4:5], v[2:3]
	v_fma_f64 v[4:5], v[69:70], s[12:13], v[210:211]
	v_add_f64_e32 v[2:3], v[4:5], v[2:3]
	v_fma_f64 v[4:5], v[75:76], s[26:27], v[214:215]
	s_delay_alu instid0(VALU_DEP_1) | instskip(SKIP_1) | instid1(VALU_DEP_1)
	v_add_f64_e32 v[2:3], v[4:5], v[2:3]
	v_fma_f64 v[4:5], v[79:80], s[18:19], v[218:219]
	v_add_f64_e32 v[2:3], v[4:5], v[2:3]
	v_fma_f64 v[4:5], v[83:84], s[8:9], v[222:223]
	;; [unrolled: 5-line block ×3, first 2 shown]
	s_delay_alu instid0(VALU_DEP_1) | instskip(SKIP_1) | instid1(VALU_DEP_1)
	v_add_f64_e32 v[2:3], v[4:5], v[2:3]
	v_fma_f64 v[4:5], v[91:92], s[24:25], -v[228:229]
	v_add_f64_e32 v[0:1], v[4:5], v[0:1]
	s_wait_loadcnt 0x1
	s_delay_alu instid0(VALU_DEP_3) | instskip(NEXT) | instid1(VALU_DEP_2)
	v_mul_f64_e32 v[4:5], v[2:3], v[6:7]
	v_mul_f64_e32 v[6:7], v[0:1], v[6:7]
	s_wait_loadcnt 0x0
	s_delay_alu instid0(VALU_DEP_2)
	v_fma_f64 v[47:48], v[0:1], v[8:9], -v[4:5]
	v_fma_f64 v[0:1], v[59:60], s[8:9], -v[24:25]
	v_fma_f64 v[4:5], v[65:66], s[18:19], v[103:104]
	scratch_load_b64 v[24:25], off, off offset:124 th:TH_LOAD_LU ; 8-byte Folded Reload
	v_fma_f64 v[45:46], v[2:3], v[8:9], v[6:7]
	v_fma_f64 v[2:3], v[61:62], s[18:19], -v[57:58]
	v_add_f64_e32 v[0:1], v[51:52], v[0:1]
	s_clause 0x1
	scratch_load_b64 v[6:7], off, off offset:456 th:TH_LOAD_LU
	scratch_load_b64 v[8:9], off, off offset:448 th:TH_LOAD_LU
	v_add_f64_e32 v[0:1], v[2:3], v[0:1]
	v_fma_f64 v[2:3], v[67:68], s[16:17], -v[182:183]
	s_delay_alu instid0(VALU_DEP_1) | instskip(SKIP_1) | instid1(VALU_DEP_1)
	v_add_f64_e32 v[0:1], v[2:3], v[0:1]
	v_fma_f64 v[2:3], v[71:72], s[10:11], -v[186:187]
	v_add_f64_e32 v[0:1], v[2:3], v[0:1]
	v_fma_f64 v[2:3], v[77:78], s[26:27], -v[190:191]
	s_delay_alu instid0(VALU_DEP_1) | instskip(SKIP_1) | instid1(VALU_DEP_1)
	v_add_f64_e32 v[0:1], v[2:3], v[0:1]
	v_fma_f64 v[2:3], v[81:82], s[6:7], -v[194:195]
	v_add_f64_e32 v[0:1], v[2:3], v[0:1]
	v_fma_f64 v[2:3], v[63:64], s[8:9], v[178:179]
	s_delay_alu instid0(VALU_DEP_1) | instskip(NEXT) | instid1(VALU_DEP_1)
	v_add_f64_e32 v[2:3], v[49:50], v[2:3]
	v_add_f64_e32 v[2:3], v[4:5], v[2:3]
	v_fma_f64 v[4:5], v[69:70], s[16:17], v[184:185]
	s_delay_alu instid0(VALU_DEP_1) | instskip(SKIP_1) | instid1(VALU_DEP_1)
	v_add_f64_e32 v[2:3], v[4:5], v[2:3]
	v_fma_f64 v[4:5], v[75:76], s[10:11], v[188:189]
	v_add_f64_e32 v[2:3], v[4:5], v[2:3]
	v_fma_f64 v[4:5], v[79:80], s[26:27], v[192:193]
	s_delay_alu instid0(VALU_DEP_1) | instskip(SKIP_1) | instid1(VALU_DEP_1)
	v_add_f64_e32 v[2:3], v[4:5], v[2:3]
	v_fma_f64 v[4:5], v[83:84], s[6:7], v[196:197]
	v_add_f64_e32 v[2:3], v[4:5], v[2:3]
	v_fma_f64 v[4:5], v[85:86], s[24:25], -v[198:199]
	s_delay_alu instid0(VALU_DEP_1) | instskip(SKIP_1) | instid1(VALU_DEP_1)
	v_add_f64_e32 v[0:1], v[4:5], v[0:1]
	v_fma_f64 v[4:5], v[87:88], s[24:25], v[200:201]
	v_add_f64_e32 v[2:3], v[4:5], v[2:3]
	v_fma_f64 v[4:5], v[89:90], s[12:13], v[202:203]
	s_delay_alu instid0(VALU_DEP_1) | instskip(SKIP_1) | instid1(VALU_DEP_1)
	v_add_f64_e32 v[2:3], v[4:5], v[2:3]
	v_fma_f64 v[4:5], v[91:92], s[12:13], -v[204:205]
	v_add_f64_e32 v[0:1], v[4:5], v[0:1]
	s_wait_loadcnt 0x1
	s_delay_alu instid0(VALU_DEP_3) | instskip(NEXT) | instid1(VALU_DEP_2)
	v_mul_f64_e32 v[4:5], v[2:3], v[6:7]
	v_mul_f64_e32 v[6:7], v[0:1], v[6:7]
	s_wait_loadcnt 0x0
	s_delay_alu instid0(VALU_DEP_2)
	v_fma_f64 v[204:205], v[0:1], v[8:9], -v[4:5]
	scratch_load_b64 v[4:5], off, off offset:116 th:TH_LOAD_LU ; 8-byte Folded Reload
	v_fma_f64 v[202:203], v[2:3], v[8:9], v[6:7]
	s_clause 0x1
	scratch_load_b64 v[2:3], off, off offset:108 th:TH_LOAD_LU
	scratch_load_b64 v[8:9], off, off offset:264 th:TH_LOAD_LU
	s_wait_loadcnt 0x1
	v_mul_f64_e32 v[0:1], v[2:3], v[55:56]
	s_delay_alu instid0(VALU_DEP_1) | instskip(SKIP_2) | instid1(VALU_DEP_2)
	v_fma_f64 v[12:13], v[53:54], v[4:5], v[0:1]
	v_mul_f64_e32 v[0:1], v[4:5], v[55:56]
	v_fma_f64 v[4:5], v[65:66], s[8:9], v[248:249]
	v_fma_f64 v[20:21], v[53:54], v[2:3], -v[0:1]
	s_clause 0x2
	scratch_load_b64 v[0:1], off, off offset:736 th:TH_LOAD_LU
	scratch_load_b64 v[2:3], off, off offset:744 th:TH_LOAD_LU
	;; [unrolled: 1-line block ×3, first 2 shown]
	s_wait_loadcnt 0x2
	v_fma_f64 v[0:1], v[59:60], s[12:13], -v[0:1]
	s_wait_loadcnt 0x1
	v_fma_f64 v[2:3], v[61:62], s[8:9], -v[2:3]
	s_delay_alu instid0(VALU_DEP_2) | instskip(NEXT) | instid1(VALU_DEP_1)
	v_add_f64_e32 v[0:1], v[51:52], v[0:1]
	v_add_f64_e32 v[0:1], v[2:3], v[0:1]
	v_fma_f64 v[2:3], v[63:64], s[12:13], v[246:247]
	s_delay_alu instid0(VALU_DEP_1) | instskip(NEXT) | instid1(VALU_DEP_1)
	v_add_f64_e32 v[2:3], v[49:50], v[2:3]
	v_add_f64_e32 v[2:3], v[4:5], v[2:3]
	v_fma_f64 v[4:5], v[67:68], s[24:25], -v[250:251]
	s_delay_alu instid0(VALU_DEP_1) | instskip(SKIP_1) | instid1(VALU_DEP_1)
	v_add_f64_e32 v[0:1], v[4:5], v[0:1]
	v_fma_f64 v[4:5], v[69:70], s[24:25], v[252:253]
	v_add_f64_e32 v[2:3], v[4:5], v[2:3]
	v_fma_f64 v[4:5], v[71:72], s[18:19], -v[254:255]
	s_delay_alu instid0(VALU_DEP_1) | instskip(SKIP_1) | instid1(VALU_DEP_1)
	v_add_f64_e32 v[0:1], v[4:5], v[0:1]
	v_fma_f64 v[4:5], v[75:76], s[18:19], v[133:134]
	;; [unrolled: 5-line block ×5, first 2 shown]
	v_add_f64_e32 v[2:3], v[4:5], v[2:3]
	v_fma_f64 v[4:5], v[89:90], s[10:11], v[119:120]
	s_delay_alu instid0(VALU_DEP_1) | instskip(SKIP_1) | instid1(VALU_DEP_1)
	v_add_f64_e32 v[4:5], v[4:5], v[2:3]
	v_fma_f64 v[2:3], v[91:92], s[10:11], -v[107:108]
	v_add_f64_e32 v[0:1], v[2:3], v[0:1]
	s_wait_loadcnt 0x0
	s_delay_alu instid0(VALU_DEP_3) | instskip(NEXT) | instid1(VALU_DEP_2)
	v_mul_f64_e32 v[2:3], v[4:5], v[6:7]
	v_mul_f64_e32 v[6:7], v[0:1], v[6:7]
	s_delay_alu instid0(VALU_DEP_2) | instskip(NEXT) | instid1(VALU_DEP_2)
	v_fma_f64 v[2:3], v[0:1], v[8:9], -v[2:3]
	v_fma_f64 v[0:1], v[4:5], v[8:9], v[6:7]
	s_clause 0x2
	scratch_load_b64 v[4:5], off, off offset:368 th:TH_LOAD_LU
	scratch_load_b64 v[6:7], off, off offset:392 th:TH_LOAD_LU
	scratch_load_b64 v[8:9], off, off offset:376 th:TH_LOAD_LU
	s_wait_loadcnt 0x2
	v_add_f64_e32 v[4:5], v[49:50], v[4:5]
	s_wait_loadcnt 0x1
	s_delay_alu instid0(VALU_DEP_1) | instskip(SKIP_3) | instid1(VALU_DEP_1)
	v_add_f64_e32 v[4:5], v[4:5], v[6:7]
	scratch_load_b64 v[6:7], off, off offset:344 th:TH_LOAD_LU ; 8-byte Folded Reload
	s_wait_loadcnt 0x0
	v_add_f64_e32 v[6:7], v[51:52], v[6:7]
	v_add_f64_e32 v[6:7], v[6:7], v[8:9]
	scratch_load_b64 v[8:9], off, off offset:408 th:TH_LOAD_LU ; 8-byte Folded Reload
	s_wait_loadcnt 0x0
	v_add_f64_e32 v[4:5], v[4:5], v[8:9]
	scratch_load_b64 v[8:9], off, off offset:400 th:TH_LOAD_LU ; 8-byte Folded Reload
	s_wait_loadcnt 0x0
	;; [unrolled: 3-line block ×28, first 2 shown]
	v_add_f64_e32 v[6:7], v[6:7], v[8:9]
	v_mul_f64_e32 v[8:9], v[4:5], v[10:11]
	s_delay_alu instid0(VALU_DEP_2) | instskip(NEXT) | instid1(VALU_DEP_2)
	v_mul_f64_e32 v[10:11], v[6:7], v[10:11]
	v_fma_f64 v[6:7], v[6:7], v[14:15], -v[8:9]
	scratch_load_b64 v[8:9], off, off offset:156 th:TH_LOAD_LU ; 8-byte Folded Reload
	v_fma_f64 v[4:5], v[4:5], v[14:15], v[10:11]
	s_clause 0x1
	scratch_load_b64 v[10:11], off, off offset:164 th:TH_LOAD_LU
	scratch_load_b64 v[14:15], off, off offset:180 th:TH_LOAD_LU
	s_wait_loadcnt 0x2
	v_fma_f64 v[8:9], v[59:60], s[10:11], -v[8:9]
	s_wait_loadcnt 0x1
	v_fma_f64 v[10:11], v[61:62], s[12:13], -v[10:11]
	s_delay_alu instid0(VALU_DEP_2) | instskip(SKIP_2) | instid1(VALU_DEP_2)
	v_add_f64_e32 v[8:9], v[51:52], v[8:9]
	s_wait_loadcnt 0x0
	v_fma_f64 v[14:15], v[65:66], s[12:13], v[14:15]
	v_add_f64_e32 v[8:9], v[10:11], v[8:9]
	scratch_load_b64 v[10:11], off, off offset:172 th:TH_LOAD_LU ; 8-byte Folded Reload
	s_wait_loadcnt 0x0
	v_fma_f64 v[10:11], v[63:64], s[10:11], v[10:11]
	s_delay_alu instid0(VALU_DEP_1) | instskip(NEXT) | instid1(VALU_DEP_1)
	v_add_f64_e32 v[10:11], v[49:50], v[10:11]
	v_add_f64_e32 v[10:11], v[14:15], v[10:11]
	scratch_load_b64 v[14:15], off, off offset:188 th:TH_LOAD_LU ; 8-byte Folded Reload
	s_wait_loadcnt 0x0
	v_fma_f64 v[14:15], v[67:68], s[26:27], -v[14:15]
	s_delay_alu instid0(VALU_DEP_1) | instskip(SKIP_3) | instid1(VALU_DEP_1)
	v_add_f64_e32 v[8:9], v[14:15], v[8:9]
	scratch_load_b64 v[14:15], off, off offset:204 th:TH_LOAD_LU ; 8-byte Folded Reload
	s_wait_loadcnt 0x0
	v_fma_f64 v[14:15], v[69:70], s[26:27], v[14:15]
	v_add_f64_e32 v[10:11], v[14:15], v[10:11]
	scratch_load_b64 v[14:15], off, off offset:232 th:TH_LOAD_LU ; 8-byte Folded Reload
	s_wait_loadcnt 0x0
	v_fma_f64 v[14:15], v[71:72], s[8:9], -v[14:15]
	s_delay_alu instid0(VALU_DEP_1) | instskip(SKIP_3) | instid1(VALU_DEP_1)
	v_add_f64_e32 v[8:9], v[14:15], v[8:9]
	scratch_load_b64 v[14:15], off, off offset:248 th:TH_LOAD_LU ; 8-byte Folded Reload
	s_wait_loadcnt 0x0
	v_fma_f64 v[14:15], v[75:76], s[8:9], v[14:15]
	v_add_f64_e32 v[10:11], v[14:15], v[10:11]
	scratch_load_b64 v[14:15], off, off offset:256 th:TH_LOAD_LU ; 8-byte Folded Reload
	s_wait_loadcnt 0x0
	v_fma_f64 v[14:15], v[77:78], s[16:17], -v[14:15]
	s_delay_alu instid0(VALU_DEP_1) | instskip(SKIP_3) | instid1(VALU_DEP_1)
	v_add_f64_e32 v[8:9], v[14:15], v[8:9]
	scratch_load_b64 v[14:15], off, off offset:272 th:TH_LOAD_LU ; 8-byte Folded Reload
	s_wait_loadcnt 0x0
	v_fma_f64 v[14:15], v[79:80], s[16:17], v[14:15]
	v_add_f64_e32 v[10:11], v[14:15], v[10:11]
	scratch_load_b64 v[14:15], off, off offset:288 th:TH_LOAD_LU ; 8-byte Folded Reload
	s_wait_loadcnt 0x0
	v_fma_f64 v[14:15], v[81:82], s[24:25], -v[14:15]
	s_delay_alu instid0(VALU_DEP_1) | instskip(SKIP_3) | instid1(VALU_DEP_1)
	v_add_f64_e32 v[8:9], v[14:15], v[8:9]
	scratch_load_b64 v[14:15], off, off offset:304 th:TH_LOAD_LU ; 8-byte Folded Reload
	s_wait_loadcnt 0x0
	v_fma_f64 v[14:15], v[83:84], s[24:25], v[14:15]
	v_add_f64_e32 v[10:11], v[14:15], v[10:11]
	scratch_load_b64 v[14:15], off, off offset:320 th:TH_LOAD_LU ; 8-byte Folded Reload
	s_wait_loadcnt 0x0
	v_fma_f64 v[14:15], v[85:86], s[6:7], -v[14:15]
	s_delay_alu instid0(VALU_DEP_1) | instskip(SKIP_3) | instid1(VALU_DEP_1)
	v_add_f64_e32 v[8:9], v[14:15], v[8:9]
	scratch_load_b64 v[14:15], off, off offset:328 th:TH_LOAD_LU ; 8-byte Folded Reload
	s_wait_loadcnt 0x0
	v_fma_f64 v[14:15], v[87:88], s[6:7], v[14:15]
	v_add_f64_e32 v[10:11], v[14:15], v[10:11]
	scratch_load_b64 v[14:15], off, off offset:336 th:TH_LOAD_LU ; 8-byte Folded Reload
	s_wait_loadcnt 0x0
	v_fma_f64 v[14:15], v[89:90], s[18:19], v[14:15]
	s_delay_alu instid0(VALU_DEP_1) | instskip(SKIP_3) | instid1(VALU_DEP_1)
	v_add_f64_e32 v[14:15], v[14:15], v[10:11]
	scratch_load_b64 v[10:11], off, off offset:360 th:TH_LOAD_LU ; 8-byte Folded Reload
	s_wait_loadcnt 0x0
	v_fma_f64 v[10:11], v[91:92], s[18:19], -v[10:11]
	v_add_f64_e32 v[8:9], v[10:11], v[8:9]
	v_mul_f64_e32 v[10:11], v[14:15], v[22:23]
	s_delay_alu instid0(VALU_DEP_2) | instskip(NEXT) | instid1(VALU_DEP_2)
	v_mul_f64_e32 v[22:23], v[8:9], v[22:23]
	v_fma_f64 v[10:11], v[8:9], v[24:25], -v[10:11]
	s_delay_alu instid0(VALU_DEP_2)
	v_fma_f64 v[8:9], v[14:15], v[24:25], v[22:23]
	s_clause 0x2
	scratch_load_b64 v[14:15], off, off offset:504 th:TH_LOAD_LU
	scratch_load_b64 v[22:23], off, off offset:552 th:TH_LOAD_LU
	;; [unrolled: 1-line block ×3, first 2 shown]
	s_wait_loadcnt 0x2
	v_fma_f64 v[14:15], v[59:60], s[26:27], -v[14:15]
	s_wait_loadcnt 0x1
	v_fma_f64 v[22:23], v[63:64], s[26:27], v[22:23]
	s_wait_loadcnt 0x0
	v_fma_f64 v[24:25], v[61:62], s[24:25], -v[24:25]
	s_delay_alu instid0(VALU_DEP_3) | instskip(NEXT) | instid1(VALU_DEP_3)
	v_add_f64_e32 v[14:15], v[51:52], v[14:15]
	v_add_f64_e32 v[22:23], v[49:50], v[22:23]
	s_delay_alu instid0(VALU_DEP_2) | instskip(NEXT) | instid1(VALU_DEP_2)
	v_add_f64_e32 v[14:15], v[24:25], v[14:15]
	v_add_f64_e32 v[22:23], v[26:27], v[22:23]
	s_clause 0x1
	scratch_load_b64 v[24:25], off, off offset:536 th:TH_LOAD_LU
	scratch_load_b64 v[26:27], off, off offset:576 th:TH_LOAD_LU
	s_wait_loadcnt 0x1
	v_fma_f64 v[24:25], v[67:68], s[18:19], -v[24:25]
	s_wait_loadcnt 0x0
	v_fma_f64 v[26:27], v[69:70], s[18:19], v[26:27]
	s_delay_alu instid0(VALU_DEP_2) | instskip(NEXT) | instid1(VALU_DEP_2)
	v_add_f64_e32 v[14:15], v[24:25], v[14:15]
	v_add_f64_e32 v[22:23], v[26:27], v[22:23]
	s_clause 0x1
	scratch_load_b64 v[26:27], off, off offset:592 th:TH_LOAD_LU
	scratch_load_b64 v[24:25], off, off offset:568 th:TH_LOAD_LU
	s_wait_loadcnt 0x1
	v_fma_f64 v[26:27], v[75:76], s[16:17], v[26:27]
	s_delay_alu instid0(VALU_DEP_1) | instskip(SKIP_3) | instid1(VALU_DEP_1)
	v_add_f64_e32 v[22:23], v[26:27], v[22:23]
	scratch_load_b64 v[26:27], off, off offset:584 th:TH_LOAD_LU ; 8-byte Folded Reload
	s_wait_loadcnt 0x1
	v_fma_f64 v[24:25], v[71:72], s[16:17], -v[24:25]
	v_add_f64_e32 v[14:15], v[24:25], v[14:15]
	scratch_load_b64 v[24:25], off, off offset:608 th:TH_LOAD_LU ; 8-byte Folded Reload
	s_wait_loadcnt 0x1
	v_fma_f64 v[26:27], v[77:78], s[12:13], -v[26:27]
	s_delay_alu instid0(VALU_DEP_1)
	v_add_f64_e32 v[14:15], v[26:27], v[14:15]
	scratch_load_b64 v[26:27], off, off offset:656 th:TH_LOAD_LU ; 8-byte Folded Reload
	s_wait_loadcnt 0x1
	v_fma_f64 v[24:25], v[79:80], s[12:13], v[24:25]
	v_add_f64_e32 v[14:15], v[28:29], v[14:15]
	scratch_load_b64 v[28:29], off, off offset:696 th:TH_LOAD_LU ; 8-byte Folded Reload
	v_add_f64_e32 v[22:23], v[24:25], v[22:23]
	scratch_load_b64 v[24:25], off, off offset:632 th:TH_LOAD_LU ; 8-byte Folded Reload
	;; [unrolled: 2-line block ×3, first 2 shown]
	s_wait_loadcnt 0x3
	v_fma_f64 v[26:27], v[87:88], s[8:9], v[26:27]
	s_wait_loadcnt 0x2
	v_fma_f64 v[28:29], v[91:92], s[6:7], -v[28:29]
	s_delay_alu instid0(VALU_DEP_2) | instskip(SKIP_4) | instid1(VALU_DEP_2)
	v_add_f64_e32 v[22:23], v[26:27], v[22:23]
	s_wait_loadcnt 0x1
	v_fma_f64 v[24:25], v[85:86], s[8:9], -v[24:25]
	s_wait_loadcnt 0x0
	v_fma_f64 v[30:31], v[89:90], s[6:7], v[30:31]
	v_add_f64_e32 v[14:15], v[24:25], v[14:15]
	s_delay_alu instid0(VALU_DEP_2) | instskip(NEXT) | instid1(VALU_DEP_2)
	v_add_f64_e32 v[22:23], v[30:31], v[22:23]
	v_add_f64_e32 v[14:15], v[28:29], v[14:15]
	s_delay_alu instid0(VALU_DEP_2) | instskip(NEXT) | instid1(VALU_DEP_2)
	v_mul_f64_e32 v[24:25], v[22:23], v[12:13]
	v_mul_f64_e32 v[12:13], v[14:15], v[12:13]
	s_delay_alu instid0(VALU_DEP_2) | instskip(NEXT) | instid1(VALU_DEP_2)
	v_fma_f64 v[14:15], v[14:15], v[20:21], -v[24:25]
	v_fma_f64 v[12:13], v[22:23], v[20:21], v[12:13]
	s_clause 0x1
	scratch_load_b32 v22, off, off th:TH_LOAD_LU
	scratch_load_b32 v23, off, off offset:84 th:TH_LOAD_LU
	s_wait_loadcnt 0x1
	v_mad_co_u64_u32 v[20:21], null, s2, v22, 0
	s_delay_alu instid0(VALU_DEP_1)
	v_mad_co_u64_u32 v[21:22], null, s3, v22, v[21:22]
	scratch_load_b32 v22, off, off offset:212 th:TH_LOAD_LU ; 4-byte Folded Reload
	s_mul_u64 s[2:3], s[62:63], s[20:21]
	s_wait_alu 0xfffe
	s_lshl_b64 s[2:3], s[2:3], 4
	s_wait_alu 0xfffe
	s_add_nc_u64 s[2:3], s[14:15], s[2:3]
	v_lshlrev_b64_e32 v[20:21], 4, v[20:21]
	s_wait_alu 0xfffe
	s_add_nc_u64 s[2:3], s[2:3], s[4:5]
	s_wait_loadcnt 0x0
	v_mul_hi_u32 v22, 0x226b903, v22
	s_delay_alu instid0(VALU_DEP_1) | instskip(NEXT) | instid1(VALU_DEP_1)
	v_mad_u32_u24 v25, 0x121, v22, v23
	v_mad_co_u64_u32 v[22:23], null, s0, v25, 0
	s_delay_alu instid0(VALU_DEP_1) | instskip(SKIP_4) | instid1(VALU_DEP_3)
	v_mad_co_u64_u32 v[23:24], null, s1, v25, v[23:24]
	s_wait_alu 0xfffe
	v_add_co_u32 v24, vcc_lo, s2, v20
	s_wait_alu 0xfffd
	v_add_co_ci_u32_e32 v26, vcc_lo, s3, v21, vcc_lo
	v_lshlrev_b64_e32 v[20:21], 4, v[22:23]
	s_delay_alu instid0(VALU_DEP_1) | instskip(SKIP_1) | instid1(VALU_DEP_2)
	v_add_co_u32 v20, vcc_lo, v24, v20
	s_wait_alu 0xfffd
	v_add_co_ci_u32_e32 v21, vcc_lo, v26, v21, vcc_lo
	global_store_b128 v[20:21], v[4:7], off
	v_add_nc_u32_e32 v6, 17, v25
	s_delay_alu instid0(VALU_DEP_1) | instskip(NEXT) | instid1(VALU_DEP_1)
	v_mad_co_u64_u32 v[4:5], null, s0, v6, 0
	v_mad_co_u64_u32 v[5:6], null, s1, v6, v[5:6]
	v_add_nc_u32_e32 v6, 34, v25
	s_delay_alu instid0(VALU_DEP_2) | instskip(NEXT) | instid1(VALU_DEP_1)
	v_lshlrev_b64_e32 v[4:5], 4, v[4:5]
	v_add_co_u32 v4, vcc_lo, v24, v4
	s_wait_alu 0xfffd
	s_delay_alu instid0(VALU_DEP_2)
	v_add_co_ci_u32_e32 v5, vcc_lo, v26, v5, vcc_lo
	global_store_b128 v[4:5], v[8:11], off
	v_mad_co_u64_u32 v[4:5], null, s0, v6, 0
	v_add_nc_u32_e32 v8, 51, v25
	v_add_nc_u32_e32 v9, 0x66, v25
	;; [unrolled: 1-line block ×3, first 2 shown]
	s_delay_alu instid0(VALU_DEP_4) | instskip(NEXT) | instid1(VALU_DEP_4)
	v_mad_co_u64_u32 v[5:6], null, s1, v6, v[5:6]
	v_mad_co_u64_u32 v[6:7], null, s0, v8, 0
	s_delay_alu instid0(VALU_DEP_2) | instskip(NEXT) | instid1(VALU_DEP_2)
	v_lshlrev_b64_e32 v[4:5], 4, v[4:5]
	v_mad_co_u64_u32 v[7:8], null, s1, v8, v[7:8]
	v_add_nc_u32_e32 v8, 0x44, v25
	s_delay_alu instid0(VALU_DEP_3) | instskip(SKIP_1) | instid1(VALU_DEP_4)
	v_add_co_u32 v4, vcc_lo, v24, v4
	s_wait_alu 0xfffd
	v_add_co_ci_u32_e32 v5, vcc_lo, v26, v5, vcc_lo
	s_delay_alu instid0(VALU_DEP_4)
	v_lshlrev_b64_e32 v[6:7], 4, v[6:7]
	global_store_b128 v[4:5], v[0:3], off
	v_mad_co_u64_u32 v[0:1], null, s0, v8, 0
	v_add_co_u32 v2, vcc_lo, v24, v6
	s_wait_alu 0xfffd
	v_add_co_ci_u32_e32 v3, vcc_lo, v26, v7, vcc_lo
	v_add_nc_u32_e32 v7, 0x55, v25
	global_store_b128 v[2:3], v[12:15], off
	v_add_nc_u32_e32 v13, 0x99, v25
	v_mad_co_u64_u32 v[2:3], null, s0, v7, 0
	v_add_nc_u32_e32 v14, 0xaa, v25
	v_add_nc_u32_e32 v15, 0xbb, v25
	s_delay_alu instid0(VALU_DEP_3) | instskip(SKIP_1) | instid1(VALU_DEP_2)
	v_mad_co_u64_u32 v[4:5], null, s1, v8, v[1:2]
	v_mad_co_u64_u32 v[5:6], null, s0, v9, 0
	v_mov_b32_e32 v1, v4
	v_mad_co_u64_u32 v[3:4], null, s1, v7, v[3:4]
	s_delay_alu instid0(VALU_DEP_3) | instskip(NEXT) | instid1(VALU_DEP_3)
	v_mov_b32_e32 v4, v6
	v_lshlrev_b64_e32 v[0:1], 4, v[0:1]
	s_delay_alu instid0(VALU_DEP_2) | instskip(SKIP_1) | instid1(VALU_DEP_3)
	v_mad_co_u64_u32 v[6:7], null, s1, v9, v[4:5]
	v_add_nc_u32_e32 v9, 0x77, v25
	v_add_co_u32 v0, vcc_lo, v24, v0
	s_wait_alu 0xfffd
	s_delay_alu instid0(VALU_DEP_4) | instskip(NEXT) | instid1(VALU_DEP_3)
	v_add_co_ci_u32_e32 v1, vcc_lo, v26, v1, vcc_lo
	v_mad_co_u64_u32 v[7:8], null, s0, v9, 0
	v_lshlrev_b64_e32 v[2:3], 4, v[2:3]
	global_store_b128 v[0:1], v[202:205], off
	v_lshlrev_b64_e32 v[0:1], 4, v[5:6]
	v_mad_co_u64_u32 v[5:6], null, s0, v11, 0
	v_mov_b32_e32 v4, v8
	v_add_co_u32 v2, vcc_lo, v24, v2
	s_wait_alu 0xfffd
	v_add_co_ci_u32_e32 v3, vcc_lo, v26, v3, vcc_lo
	s_delay_alu instid0(VALU_DEP_3)
	v_mad_co_u64_u32 v[8:9], null, s1, v9, v[4:5]
	v_mad_co_u64_u32 v[9:10], null, s0, v13, 0
	v_add_co_u32 v0, vcc_lo, v24, v0
	v_mov_b32_e32 v4, v6
	s_wait_alu 0xfffd
	v_add_co_ci_u32_e32 v1, vcc_lo, v26, v1, vcc_lo
	global_store_b128 v[2:3], v[45:48], off
	v_mad_co_u64_u32 v[2:3], null, s0, v14, 0
	v_mad_co_u64_u32 v[11:12], null, s1, v11, v[4:5]
	global_store_b128 v[0:1], v[41:44], off
	v_mov_b32_e32 v0, v10
	v_lshlrev_b64_e32 v[7:8], 4, v[7:8]
	s_delay_alu instid0(VALU_DEP_2) | instskip(SKIP_2) | instid1(VALU_DEP_4)
	v_mad_co_u64_u32 v[0:1], null, s1, v13, v[0:1]
	v_dual_mov_b32 v6, v11 :: v_dual_mov_b32 v1, v3
	v_mad_co_u64_u32 v[11:12], null, s0, v15, 0
	v_add_co_u32 v7, vcc_lo, v24, v7
	s_delay_alu instid0(VALU_DEP_3) | instskip(NEXT) | instid1(VALU_DEP_4)
	v_lshlrev_b64_e32 v[3:4], 4, v[5:6]
	v_mad_co_u64_u32 v[5:6], null, s1, v14, v[1:2]
	v_mov_b32_e32 v10, v0
	s_wait_alu 0xfffd
	v_add_co_ci_u32_e32 v8, vcc_lo, v26, v8, vcc_lo
	v_mov_b32_e32 v0, v12
	v_add_co_u32 v12, vcc_lo, v24, v3
	v_lshlrev_b64_e32 v[9:10], 4, v[9:10]
	v_mov_b32_e32 v3, v5
	s_wait_alu 0xfffd
	v_add_co_ci_u32_e32 v13, vcc_lo, v26, v4, vcc_lo
	v_mad_co_u64_u32 v[0:1], null, s1, v15, v[0:1]
	s_delay_alu instid0(VALU_DEP_3)
	v_lshlrev_b64_e32 v[1:2], 4, v[2:3]
	v_add_co_u32 v3, vcc_lo, v24, v9
	s_wait_alu 0xfffd
	v_add_co_ci_u32_e32 v4, vcc_lo, v26, v10, vcc_lo
	s_clause 0x1
	global_store_b128 v[7:8], v[37:40], off
	global_store_b128 v[12:13], v[33:36], off
	v_dual_mov_b32 v12, v0 :: v_dual_add_nc_u32 v9, 0xcc, v25
	global_store_b128 v[3:4], v[16:19], off
	scratch_load_b128 v[18:21], off, off offset:92 th:TH_LOAD_LU ; 16-byte Folded Reload
	v_add_co_u32 v0, vcc_lo, v24, v1
	v_mad_co_u64_u32 v[5:6], null, s0, v9, 0
	s_wait_alu 0xfffd
	v_add_co_ci_u32_e32 v1, vcc_lo, v26, v2, vcc_lo
	v_add_nc_u32_e32 v13, 0xdd, v25
	v_lshlrev_b64_e32 v[2:3], 4, v[11:12]
	v_add_nc_u32_e32 v14, 0xee, v25
	global_store_b128 v[0:1], v[242:245], off
	v_mov_b32_e32 v4, v6
	v_mad_co_u64_u32 v[0:1], null, s0, v13, 0
	v_mad_co_u64_u32 v[7:8], null, s0, v14, 0
	v_add_co_u32 v2, vcc_lo, v24, v2
	s_delay_alu instid0(VALU_DEP_4) | instskip(SKIP_1) | instid1(VALU_DEP_3)
	v_mad_co_u64_u32 v[9:10], null, s1, v9, v[4:5]
	v_add_nc_u32_e32 v16, 0xff, v25
	v_mad_co_u64_u32 v[10:11], null, s1, v13, v[1:2]
	s_wait_alu 0xfffd
	v_add_co_ci_u32_e32 v3, vcc_lo, v26, v3, vcc_lo
	s_delay_alu instid0(VALU_DEP_3) | instskip(SKIP_2) | instid1(VALU_DEP_2)
	v_mad_co_u64_u32 v[11:12], null, s0, v16, 0
	v_dual_mov_b32 v1, v8 :: v_dual_mov_b32 v6, v9
	v_add_nc_u32_e32 v17, 0x110, v25
	v_mad_co_u64_u32 v[13:14], null, s1, v14, v[1:2]
	s_delay_alu instid0(VALU_DEP_2) | instskip(NEXT) | instid1(VALU_DEP_2)
	v_mad_co_u64_u32 v[14:15], null, s0, v17, 0
	v_dual_mov_b32 v1, v10 :: v_dual_mov_b32 v8, v13
	s_delay_alu instid0(VALU_DEP_1) | instskip(SKIP_4) | instid1(VALU_DEP_1)
	v_lshlrev_b64_e32 v[0:1], 4, v[0:1]
	s_wait_loadcnt 0x0
	global_store_b128 v[2:3], v[18:21], off
	v_lshlrev_b64_e32 v[3:4], 4, v[5:6]
	v_mov_b32_e32 v2, v12
	v_mad_co_u64_u32 v[5:6], null, s1, v16, v[2:3]
	v_mov_b32_e32 v2, v15
	v_add_co_u32 v3, vcc_lo, v24, v3
	v_lshlrev_b64_e32 v[6:7], 4, v[7:8]
	s_wait_alu 0xfffd
	v_add_co_ci_u32_e32 v4, vcc_lo, v26, v4, vcc_lo
	s_delay_alu instid0(VALU_DEP_3) | instskip(SKIP_4) | instid1(VALU_DEP_3)
	v_mad_co_u64_u32 v[9:10], null, s1, v17, v[2:3]
	v_mov_b32_e32 v12, v5
	v_add_co_u32 v0, vcc_lo, v24, v0
	s_wait_alu 0xfffd
	v_add_co_ci_u32_e32 v1, vcc_lo, v26, v1, vcc_lo
	v_lshlrev_b64_e32 v[10:11], 4, v[11:12]
	v_mov_b32_e32 v15, v9
	v_add_co_u32 v5, vcc_lo, v24, v6
	s_wait_alu 0xfffd
	v_add_co_ci_u32_e32 v6, vcc_lo, v26, v7, vcc_lo
	s_delay_alu instid0(VALU_DEP_4)
	v_add_co_u32 v9, vcc_lo, v24, v10
	v_lshlrev_b64_e32 v[7:8], 4, v[14:15]
	s_wait_alu 0xfffd
	v_add_co_ci_u32_e32 v10, vcc_lo, v26, v11, vcc_lo
	scratch_load_b128 v[11:14], off, off offset:68 th:TH_LOAD_LU ; 16-byte Folded Reload
	v_add_co_u32 v7, vcc_lo, v24, v7
	s_wait_alu 0xfffd
	v_add_co_ci_u32_e32 v8, vcc_lo, v26, v8, vcc_lo
	s_wait_loadcnt 0x0
	global_store_b128 v[3:4], v[11:14], off
	scratch_load_b128 v[11:14], off, off offset:52 th:TH_LOAD_LU ; 16-byte Folded Reload
	s_wait_loadcnt 0x0
	global_store_b128 v[0:1], v[11:14], off
	scratch_load_b128 v[0:3], off, off offset:36 th:TH_LOAD_LU ; 16-byte Folded Reload
	;; [unrolled: 3-line block ×4, first 2 shown]
	s_wait_loadcnt 0x0
	global_store_b128 v[7:8], v[0:3], off
.LBB0_19:
	s_endpgm
	.section	.rodata,"a",@progbits
	.p2align	6, 0x0
	.amdhsa_kernel fft_rtc_back_len289_factors_17_17_wgs_119_tpt_17_dp_op_CI_CI_sbcc_twdbase6_3step_dirReg
		.amdhsa_group_segment_fixed_size 0
		.amdhsa_private_segment_fixed_size 756
		.amdhsa_kernarg_size 112
		.amdhsa_user_sgpr_count 2
		.amdhsa_user_sgpr_dispatch_ptr 0
		.amdhsa_user_sgpr_queue_ptr 0
		.amdhsa_user_sgpr_kernarg_segment_ptr 1
		.amdhsa_user_sgpr_dispatch_id 0
		.amdhsa_user_sgpr_private_segment_size 0
		.amdhsa_wavefront_size32 1
		.amdhsa_uses_dynamic_stack 0
		.amdhsa_enable_private_segment 1
		.amdhsa_system_sgpr_workgroup_id_x 1
		.amdhsa_system_sgpr_workgroup_id_y 0
		.amdhsa_system_sgpr_workgroup_id_z 0
		.amdhsa_system_sgpr_workgroup_info 0
		.amdhsa_system_vgpr_workitem_id 0
		.amdhsa_next_free_vgpr 256
		.amdhsa_next_free_sgpr 65
		.amdhsa_reserve_vcc 1
		.amdhsa_float_round_mode_32 0
		.amdhsa_float_round_mode_16_64 0
		.amdhsa_float_denorm_mode_32 3
		.amdhsa_float_denorm_mode_16_64 3
		.amdhsa_fp16_overflow 0
		.amdhsa_workgroup_processor_mode 1
		.amdhsa_memory_ordered 1
		.amdhsa_forward_progress 0
		.amdhsa_round_robin_scheduling 0
		.amdhsa_exception_fp_ieee_invalid_op 0
		.amdhsa_exception_fp_denorm_src 0
		.amdhsa_exception_fp_ieee_div_zero 0
		.amdhsa_exception_fp_ieee_overflow 0
		.amdhsa_exception_fp_ieee_underflow 0
		.amdhsa_exception_fp_ieee_inexact 0
		.amdhsa_exception_int_div_zero 0
	.end_amdhsa_kernel
	.text
.Lfunc_end0:
	.size	fft_rtc_back_len289_factors_17_17_wgs_119_tpt_17_dp_op_CI_CI_sbcc_twdbase6_3step_dirReg, .Lfunc_end0-fft_rtc_back_len289_factors_17_17_wgs_119_tpt_17_dp_op_CI_CI_sbcc_twdbase6_3step_dirReg
                                        ; -- End function
	.section	.AMDGPU.csdata,"",@progbits
; Kernel info:
; codeLenInByte = 20876
; NumSgprs: 67
; NumVgprs: 256
; ScratchSize: 756
; MemoryBound: 1
; FloatMode: 240
; IeeeMode: 1
; LDSByteSize: 0 bytes/workgroup (compile time only)
; SGPRBlocks: 8
; VGPRBlocks: 31
; NumSGPRsForWavesPerEU: 67
; NumVGPRsForWavesPerEU: 256
; Occupancy: 5
; WaveLimiterHint : 1
; COMPUTE_PGM_RSRC2:SCRATCH_EN: 1
; COMPUTE_PGM_RSRC2:USER_SGPR: 2
; COMPUTE_PGM_RSRC2:TRAP_HANDLER: 0
; COMPUTE_PGM_RSRC2:TGID_X_EN: 1
; COMPUTE_PGM_RSRC2:TGID_Y_EN: 0
; COMPUTE_PGM_RSRC2:TGID_Z_EN: 0
; COMPUTE_PGM_RSRC2:TIDIG_COMP_CNT: 0
	.text
	.p2alignl 7, 3214868480
	.fill 96, 4, 3214868480
	.type	__hip_cuid_4d1a480dce1faba5,@object ; @__hip_cuid_4d1a480dce1faba5
	.section	.bss,"aw",@nobits
	.globl	__hip_cuid_4d1a480dce1faba5
__hip_cuid_4d1a480dce1faba5:
	.byte	0                               ; 0x0
	.size	__hip_cuid_4d1a480dce1faba5, 1

	.ident	"AMD clang version 19.0.0git (https://github.com/RadeonOpenCompute/llvm-project roc-6.4.0 25133 c7fe45cf4b819c5991fe208aaa96edf142730f1d)"
	.section	".note.GNU-stack","",@progbits
	.addrsig
	.addrsig_sym __hip_cuid_4d1a480dce1faba5
	.amdgpu_metadata
---
amdhsa.kernels:
  - .args:
      - .actual_access:  read_only
        .address_space:  global
        .offset:         0
        .size:           8
        .value_kind:     global_buffer
      - .address_space:  global
        .offset:         8
        .size:           8
        .value_kind:     global_buffer
      - .offset:         16
        .size:           8
        .value_kind:     by_value
      - .actual_access:  read_only
        .address_space:  global
        .offset:         24
        .size:           8
        .value_kind:     global_buffer
      - .actual_access:  read_only
        .address_space:  global
        .offset:         32
        .size:           8
        .value_kind:     global_buffer
      - .actual_access:  read_only
        .address_space:  global
        .offset:         40
        .size:           8
        .value_kind:     global_buffer
      - .offset:         48
        .size:           8
        .value_kind:     by_value
      - .actual_access:  read_only
        .address_space:  global
        .offset:         56
        .size:           8
        .value_kind:     global_buffer
      - .actual_access:  read_only
        .address_space:  global
        .offset:         64
        .size:           8
        .value_kind:     global_buffer
      - .offset:         72
        .size:           4
        .value_kind:     by_value
      - .actual_access:  read_only
        .address_space:  global
        .offset:         80
        .size:           8
        .value_kind:     global_buffer
      - .actual_access:  read_only
        .address_space:  global
        .offset:         88
        .size:           8
        .value_kind:     global_buffer
      - .actual_access:  read_only
        .address_space:  global
        .offset:         96
        .size:           8
        .value_kind:     global_buffer
      - .actual_access:  write_only
        .address_space:  global
        .offset:         104
        .size:           8
        .value_kind:     global_buffer
    .group_segment_fixed_size: 0
    .kernarg_segment_align: 8
    .kernarg_segment_size: 112
    .language:       OpenCL C
    .language_version:
      - 2
      - 0
    .max_flat_workgroup_size: 119
    .name:           fft_rtc_back_len289_factors_17_17_wgs_119_tpt_17_dp_op_CI_CI_sbcc_twdbase6_3step_dirReg
    .private_segment_fixed_size: 756
    .sgpr_count:     67
    .sgpr_spill_count: 0
    .symbol:         fft_rtc_back_len289_factors_17_17_wgs_119_tpt_17_dp_op_CI_CI_sbcc_twdbase6_3step_dirReg.kd
    .uniform_work_group_size: 1
    .uses_dynamic_stack: false
    .vgpr_count:     256
    .vgpr_spill_count: 229
    .wavefront_size: 32
    .workgroup_processor_mode: 1
amdhsa.target:   amdgcn-amd-amdhsa--gfx1201
amdhsa.version:
  - 1
  - 2
...

	.end_amdgpu_metadata
